;; amdgpu-corpus repo=ROCm/rocFFT kind=compiled arch=gfx906 opt=O3
	.text
	.amdgcn_target "amdgcn-amd-amdhsa--gfx906"
	.amdhsa_code_object_version 6
	.protected	bluestein_single_back_len429_dim1_sp_op_CI_CI ; -- Begin function bluestein_single_back_len429_dim1_sp_op_CI_CI
	.globl	bluestein_single_back_len429_dim1_sp_op_CI_CI
	.p2align	8
	.type	bluestein_single_back_len429_dim1_sp_op_CI_CI,@function
bluestein_single_back_len429_dim1_sp_op_CI_CI: ; @bluestein_single_back_len429_dim1_sp_op_CI_CI
; %bb.0:
	v_mul_u32_u24_e32 v1, 0x691, v0
	s_load_dwordx4 s[0:3], s[4:5], 0x28
	v_lshrrev_b32_e32 v1, 16, v1
	v_mad_u64_u32 v[64:65], s[6:7], s6, 3, v[1:2]
	v_mov_b32_e32 v65, 0
	s_waitcnt lgkmcnt(0)
	v_cmp_gt_u64_e32 vcc, s[0:1], v[64:65]
	s_and_saveexec_b64 s[0:1], vcc
	s_cbranch_execz .LBB0_23
; %bb.1:
	s_mov_b32 s0, 0xaaaaaaab
	v_mul_hi_u32 v2, v64, s0
	v_mul_lo_u16_e32 v1, 39, v1
	s_load_dwordx2 s[8:9], s[4:5], 0x0
	s_load_dwordx2 s[10:11], s[4:5], 0x38
	v_sub_u16_e32 v70, v0, v1
	v_lshrrev_b32_e32 v0, 1, v2
	v_lshl_add_u32 v0, v0, 1, v0
	v_sub_u32_e32 v0, v64, v0
	v_mul_u32_u24_e32 v42, 0x1ad, v0
	v_cmp_gt_u16_e32 vcc, 33, v70
	v_lshlrev_b32_e32 v69, 3, v70
	v_lshlrev_b32_e32 v71, 3, v42
	s_and_saveexec_b64 s[6:7], vcc
	s_cbranch_execz .LBB0_3
; %bb.2:
	s_load_dwordx2 s[0:1], s[4:5], 0x18
	v_lshl_add_u32 v55, v70, 3, v71
	s_waitcnt lgkmcnt(0)
	s_load_dwordx4 s[12:15], s[0:1], 0x0
	s_waitcnt lgkmcnt(0)
	v_mad_u64_u32 v[0:1], s[0:1], s14, v64, 0
	v_mad_u64_u32 v[2:3], s[0:1], s12, v70, 0
	;; [unrolled: 1-line block ×4, first 2 shown]
	v_mov_b32_e32 v1, v4
	v_lshlrev_b64 v[0:1], 3, v[0:1]
	v_mov_b32_e32 v3, v5
	v_mov_b32_e32 v6, s3
	v_lshlrev_b64 v[2:3], 3, v[2:3]
	v_add_co_u32_e64 v0, s[0:1], s2, v0
	v_addc_co_u32_e64 v1, s[0:1], v6, v1, s[0:1]
	v_add_co_u32_e64 v0, s[0:1], v0, v2
	v_addc_co_u32_e64 v1, s[0:1], v1, v3, s[0:1]
	s_mul_i32 s0, s13, 0x108
	s_mul_hi_u32 s1, s12, 0x108
	s_add_i32 s2, s1, s0
	s_mul_i32 s3, s12, 0x108
	v_mov_b32_e32 v3, s2
	v_add_co_u32_e64 v2, s[0:1], s3, v0
	v_addc_co_u32_e64 v3, s[0:1], v1, v3, s[0:1]
	v_mov_b32_e32 v5, s2
	v_add_co_u32_e64 v4, s[0:1], s3, v2
	v_addc_co_u32_e64 v5, s[0:1], v3, v5, s[0:1]
	;; [unrolled: 3-line block ×3, first 2 shown]
	global_load_dwordx2 v[8:9], v[0:1], off
	global_load_dwordx2 v[10:11], v[2:3], off
	;; [unrolled: 1-line block ×4, first 2 shown]
	global_load_dwordx2 v[16:17], v69, s[8:9]
	global_load_dwordx2 v[18:19], v69, s[8:9] offset:264
	global_load_dwordx2 v[20:21], v69, s[8:9] offset:528
	;; [unrolled: 1-line block ×3, first 2 shown]
	v_mov_b32_e32 v1, s2
	v_add_co_u32_e64 v0, s[0:1], s3, v6
	v_addc_co_u32_e64 v1, s[0:1], v7, v1, s[0:1]
	global_load_dwordx2 v[2:3], v[0:1], off
	v_mov_b32_e32 v4, s2
	v_add_co_u32_e64 v0, s[0:1], s3, v0
	v_addc_co_u32_e64 v1, s[0:1], v1, v4, s[0:1]
	global_load_dwordx2 v[4:5], v[0:1], off
	;; [unrolled: 4-line block ×4, first 2 shown]
	global_load_dwordx2 v[26:27], v69, s[8:9] offset:1056
	global_load_dwordx2 v[28:29], v69, s[8:9] offset:1320
	;; [unrolled: 1-line block ×4, first 2 shown]
	v_mov_b32_e32 v34, s2
	v_add_co_u32_e64 v0, s[0:1], s3, v0
	v_addc_co_u32_e64 v1, s[0:1], v1, v34, s[0:1]
	global_load_dwordx2 v[34:35], v[0:1], off
	global_load_dwordx2 v[36:37], v69, s[8:9] offset:2112
	v_mov_b32_e32 v38, s2
	v_add_co_u32_e64 v0, s[0:1], s3, v0
	v_addc_co_u32_e64 v1, s[0:1], v1, v38, s[0:1]
	global_load_dwordx2 v[38:39], v[0:1], off
	v_mov_b32_e32 v40, s2
	v_add_co_u32_e64 v0, s[0:1], s3, v0
	v_addc_co_u32_e64 v1, s[0:1], v1, v40, s[0:1]
	global_load_dwordx2 v[40:41], v[0:1], off
	global_load_dwordx2 v[43:44], v69, s[8:9] offset:2376
	global_load_dwordx2 v[45:46], v69, s[8:9] offset:2640
	v_mov_b32_e32 v47, s2
	v_add_co_u32_e64 v0, s[0:1], s3, v0
	v_addc_co_u32_e64 v1, s[0:1], v1, v47, s[0:1]
	global_load_dwordx2 v[47:48], v[0:1], off
	global_load_dwordx2 v[49:50], v69, s[8:9] offset:2904
	v_mov_b32_e32 v51, s2
	v_add_co_u32_e64 v0, s[0:1], s3, v0
	v_addc_co_u32_e64 v1, s[0:1], v1, v51, s[0:1]
	global_load_dwordx2 v[51:52], v[0:1], off
	global_load_dwordx2 v[53:54], v69, s[8:9] offset:3168
	s_waitcnt vmcnt(21)
	v_mul_f32_e32 v0, v9, v17
	v_mul_f32_e32 v1, v8, v17
	v_fmac_f32_e32 v0, v8, v16
	v_fma_f32 v1, v9, v16, -v1
	ds_write_b64 v55, v[0:1]
	s_waitcnt vmcnt(20)
	v_mul_f32_e32 v0, v11, v19
	v_mul_f32_e32 v1, v10, v19
	s_waitcnt vmcnt(19)
	v_mul_f32_e32 v8, v13, v21
	v_mul_f32_e32 v9, v12, v21
	v_fmac_f32_e32 v0, v10, v18
	v_add_u32_e32 v16, v71, v69
	v_fma_f32 v1, v11, v18, -v1
	v_fmac_f32_e32 v8, v12, v20
	v_fma_f32 v9, v13, v20, -v9
	ds_write2_b64 v16, v[0:1], v[8:9] offset0:33 offset1:66
	s_waitcnt vmcnt(18)
	v_mul_f32_e32 v0, v15, v23
	v_mul_f32_e32 v1, v14, v23
	v_fmac_f32_e32 v0, v14, v22
	v_fma_f32 v1, v15, v22, -v1
	s_waitcnt vmcnt(13)
	v_mul_f32_e32 v8, v3, v27
	v_fmac_f32_e32 v8, v2, v26
	v_mul_f32_e32 v2, v2, v27
	v_fma_f32 v9, v3, v26, -v2
	ds_write2_b64 v16, v[0:1], v[8:9] offset0:99 offset1:132
	s_waitcnt vmcnt(12)
	v_mul_f32_e32 v0, v5, v29
	v_mul_f32_e32 v1, v4, v29
	s_waitcnt vmcnt(11)
	v_mul_f32_e32 v2, v7, v31
	v_mul_f32_e32 v3, v6, v31
	v_fmac_f32_e32 v0, v4, v28
	v_fma_f32 v1, v5, v28, -v1
	v_fmac_f32_e32 v2, v6, v30
	v_fma_f32 v3, v7, v30, -v3
	ds_write2_b64 v16, v[0:1], v[2:3] offset0:165 offset1:198
	s_waitcnt vmcnt(10)
	v_mul_f32_e32 v0, v25, v33
	v_mul_f32_e32 v1, v24, v33
	s_waitcnt vmcnt(8)
	v_mul_f32_e32 v2, v35, v37
	v_mul_f32_e32 v3, v34, v37
	v_fmac_f32_e32 v0, v24, v32
	v_fma_f32 v1, v25, v32, -v1
	v_fmac_f32_e32 v2, v34, v36
	v_fma_f32 v3, v35, v36, -v3
	v_add_u32_e32 v4, 0x400, v16
	ds_write2_b64 v4, v[0:1], v[2:3] offset0:103 offset1:136
	s_waitcnt vmcnt(5)
	v_mul_f32_e32 v0, v39, v44
	v_mul_f32_e32 v1, v38, v44
	s_waitcnt vmcnt(4)
	v_mul_f32_e32 v2, v41, v46
	v_mul_f32_e32 v3, v40, v46
	v_fmac_f32_e32 v0, v38, v43
	v_fma_f32 v1, v39, v43, -v1
	v_fmac_f32_e32 v2, v40, v45
	v_fma_f32 v3, v41, v45, -v3
	v_add_u32_e32 v4, 0x800, v16
	ds_write2_b64 v4, v[0:1], v[2:3] offset0:41 offset1:74
	s_waitcnt vmcnt(2)
	v_mul_f32_e32 v0, v48, v50
	v_mul_f32_e32 v1, v47, v50
	s_waitcnt vmcnt(0)
	v_mul_f32_e32 v2, v52, v54
	v_mul_f32_e32 v3, v51, v54
	v_fmac_f32_e32 v0, v47, v49
	v_fma_f32 v1, v48, v49, -v1
	v_fmac_f32_e32 v2, v51, v53
	v_fma_f32 v3, v52, v53, -v3
	ds_write2_b64 v4, v[0:1], v[2:3] offset0:107 offset1:140
.LBB0_3:
	s_or_b64 exec, exec, s[6:7]
	v_mov_b32_e32 v4, 0
	v_mov_b32_e32 v5, 0
	s_waitcnt lgkmcnt(0)
	s_barrier
	s_waitcnt lgkmcnt(0)
                                        ; implicit-def: $vgpr10
                                        ; implicit-def: $vgpr16
                                        ; implicit-def: $vgpr24
                                        ; implicit-def: $vgpr0
                                        ; implicit-def: $vgpr22
                                        ; implicit-def: $vgpr14
	s_and_saveexec_b64 s[0:1], vcc
	s_cbranch_execz .LBB0_5
; %bb.4:
	v_lshl_add_u32 v0, v42, 3, v69
	ds_read2_b64 v[4:7], v0 offset1:33
	ds_read2_b64 v[12:15], v0 offset0:66 offset1:99
	ds_read2_b64 v[20:23], v0 offset0:132 offset1:165
	;; [unrolled: 1-line block ×3, first 2 shown]
	v_add_u32_e32 v1, 0x800, v0
	ds_read2_b64 v[16:19], v1 offset0:8 offset1:41
	ds_read2_b64 v[24:27], v1 offset0:74 offset1:107
	ds_read_b64 v[0:1], v0 offset:3168
.LBB0_5:
	s_or_b64 exec, exec, s[0:1]
	s_waitcnt lgkmcnt(0)
	v_sub_f32_e32 v73, v7, v1
	v_mul_f32_e32 v46, 0xbf52af12, v73
	v_add_f32_e32 v28, v0, v6
	v_sub_f32_e32 v76, v6, v0
	v_mov_b32_e32 v30, v46
	v_add_f32_e32 v29, v1, v7
	v_mul_f32_e32 v34, 0xbeedf032, v73
	s_mov_b32 s13, 0x3f116cb1
	v_mul_f32_e32 v51, 0xbf52af12, v76
	v_fmac_f32_e32 v30, 0x3f116cb1, v28
	v_sub_f32_e32 v78, v13, v27
	v_mov_b32_e32 v2, v34
	v_add_f32_e32 v32, v30, v4
	v_fma_f32 v30, v29, s13, -v51
	v_mul_f32_e32 v45, 0xbf52af12, v78
	s_mov_b32 s12, 0x3f62ad3f
	v_mul_f32_e32 v43, 0xbeedf032, v76
	v_fmac_f32_e32 v2, 0x3f62ad3f, v28
	v_add_f32_e32 v33, v30, v5
	v_add_f32_e32 v30, v26, v12
	v_sub_f32_e32 v79, v12, v26
	v_mov_b32_e32 v35, v45
	v_add_f32_e32 v2, v2, v4
	v_fma_f32 v3, v29, s12, -v43
	v_add_f32_e32 v31, v27, v13
	v_mul_f32_e32 v48, 0xbf52af12, v79
	v_fmac_f32_e32 v35, 0x3f116cb1, v30
	v_add_f32_e32 v3, v3, v5
	v_add_f32_e32 v2, v35, v2
	v_fma_f32 v35, v31, s13, -v48
	v_mul_f32_e32 v53, 0xbf6f5d39, v78
	v_add_f32_e32 v3, v35, v3
	v_mov_b32_e32 v35, v53
	s_mov_b32 s15, 0xbeb58ec6
	v_mul_f32_e32 v58, 0xbf6f5d39, v79
	v_fmac_f32_e32 v35, 0xbeb58ec6, v30
	v_sub_f32_e32 v80, v15, v25
	v_add_f32_e32 v35, v35, v32
	v_fma_f32 v32, v31, s15, -v58
	v_mul_f32_e32 v50, 0xbf7e222b, v80
	v_add_f32_e32 v36, v32, v33
	v_add_f32_e32 v32, v24, v14
	v_sub_f32_e32 v81, v14, v24
	v_mov_b32_e32 v37, v50
	s_mov_b32 s14, 0x3df6dbef
	v_add_f32_e32 v33, v25, v15
	v_mul_f32_e32 v54, 0xbf7e222b, v81
	v_fmac_f32_e32 v37, 0x3df6dbef, v32
	v_add_f32_e32 v2, v37, v2
	v_fma_f32 v37, v33, s14, -v54
	v_mul_f32_e32 v57, 0xbe750f2a, v80
	v_add_f32_e32 v3, v37, v3
	v_mov_b32_e32 v37, v57
	s_mov_b32 s16, 0xbf788fa5
	v_mul_f32_e32 v60, 0xbe750f2a, v81
	v_fmac_f32_e32 v37, 0xbf788fa5, v32
	v_sub_f32_e32 v84, v21, v19
	v_add_f32_e32 v37, v37, v35
	v_fma_f32 v35, v33, s16, -v60
	v_mul_f32_e32 v56, 0xbf6f5d39, v84
	v_add_f32_e32 v36, v35, v36
	v_add_f32_e32 v35, v18, v20
	v_sub_f32_e32 v89, v20, v18
	v_mov_b32_e32 v38, v56
	v_add_f32_e32 v44, v19, v21
	v_mul_f32_e32 v59, 0xbf6f5d39, v89
	v_fmac_f32_e32 v38, 0xbeb58ec6, v35
	v_add_f32_e32 v2, v38, v2
	v_fma_f32 v38, v44, s15, -v59
	v_mul_f32_e32 v62, 0x3f29c268, v84
	v_add_f32_e32 v3, v38, v3
	v_mov_b32_e32 v38, v62
	s_mov_b32 s17, 0xbf3f9e67
	v_mul_f32_e32 v65, 0x3f29c268, v89
	v_fmac_f32_e32 v38, 0xbf3f9e67, v35
	v_sub_f32_e32 v90, v23, v17
	v_add_f32_e32 v37, v38, v37
	v_fma_f32 v38, v44, s17, -v65
	v_mul_f32_e32 v61, 0xbf29c268, v90
	v_add_f32_e32 v36, v38, v36
	v_add_f32_e32 v47, v16, v22
	v_sub_f32_e32 v97, v22, v16
	v_mov_b32_e32 v38, v61
	v_add_f32_e32 v49, v17, v23
	v_mul_f32_e32 v63, 0xbf29c268, v97
	v_fmac_f32_e32 v38, 0xbf3f9e67, v47
	v_sub_f32_e32 v98, v9, v11
	v_add_f32_e32 v2, v38, v2
	v_fma_f32 v38, v49, s17, -v63
	v_mul_f32_e32 v66, 0xbe750f2a, v98
	v_add_f32_e32 v3, v38, v3
	v_add_f32_e32 v52, v10, v8
	v_sub_f32_e32 v99, v8, v10
	v_mov_b32_e32 v38, v66
	v_add_f32_e32 v55, v11, v9
	v_mul_f32_e32 v68, 0xbe750f2a, v99
	v_fmac_f32_e32 v38, 0xbf788fa5, v52
	v_mul_f32_e32 v67, 0x3f7e222b, v90
	v_add_f32_e32 v2, v38, v2
	v_fma_f32 v38, v55, s16, -v68
	v_add_f32_e32 v3, v38, v3
	v_mov_b32_e32 v38, v67
	v_mul_f32_e32 v75, 0x3f7e222b, v97
	v_fmac_f32_e32 v38, 0x3df6dbef, v47
	v_add_f32_e32 v37, v38, v37
	v_fma_f32 v38, v49, s14, -v75
	v_mul_f32_e32 v74, 0x3eedf032, v98
	v_add_f32_e32 v36, v38, v36
	v_mov_b32_e32 v38, v74
	v_fmac_f32_e32 v38, 0x3f62ad3f, v52
	v_mul_f32_e32 v77, 0x3eedf032, v99
	v_add_f32_e32 v38, v38, v37
	v_fma_f32 v37, v55, s12, -v77
	v_mul_f32_e32 v82, 0xbf7e222b, v73
	v_add_f32_e32 v39, v37, v36
	v_mov_b32_e32 v36, v82
	v_mul_f32_e32 v83, 0xbe750f2a, v78
	v_fmac_f32_e32 v36, 0x3df6dbef, v28
	v_mov_b32_e32 v37, v83
	v_add_f32_e32 v36, v36, v4
	v_fmac_f32_e32 v37, 0xbf788fa5, v30
	v_mul_f32_e32 v91, 0xbf7e222b, v76
	v_add_f32_e32 v36, v37, v36
	v_fma_f32 v37, v29, s14, -v91
	v_mul_f32_e32 v92, 0xbe750f2a, v79
	v_add_f32_e32 v37, v37, v5
	v_fma_f32 v40, v31, s16, -v92
	v_mul_f32_e32 v85, 0x3f6f5d39, v80
	v_add_f32_e32 v37, v40, v37
	v_mov_b32_e32 v40, v85
	v_fmac_f32_e32 v40, 0xbeb58ec6, v32
	v_mul_f32_e32 v93, 0x3f6f5d39, v81
	v_add_f32_e32 v36, v40, v36
	v_fma_f32 v40, v33, s15, -v93
	v_mul_f32_e32 v86, 0x3eedf032, v84
	v_add_f32_e32 v37, v40, v37
	v_mov_b32_e32 v40, v86
	v_fmac_f32_e32 v40, 0x3f62ad3f, v35
	;; [unrolled: 7-line block ×4, first 2 shown]
	v_mul_f32_e32 v96, 0xbf29c268, v99
	v_add_f32_e32 v40, v40, v36
	v_fma_f32 v36, v55, s17, -v96
	v_mul_f32_e32 v100, 0xbf6f5d39, v73
	v_add_f32_e32 v41, v36, v37
	v_mov_b32_e32 v36, v100
	v_mul_f32_e32 v101, 0x3f29c268, v78
	v_fmac_f32_e32 v36, 0xbeb58ec6, v28
	v_mov_b32_e32 v37, v101
	v_add_f32_e32 v36, v36, v4
	v_fmac_f32_e32 v37, 0xbf3f9e67, v30
	v_mul_f32_e32 v106, 0xbf6f5d39, v76
	v_add_f32_e32 v36, v37, v36
	v_fma_f32 v37, v29, s15, -v106
	v_mul_f32_e32 v107, 0x3f29c268, v79
	v_add_f32_e32 v37, v37, v5
	v_fma_f32 v72, v31, s17, -v107
	v_mul_f32_e32 v102, 0x3eedf032, v80
	v_add_f32_e32 v37, v72, v37
	v_mov_b32_e32 v72, v102
	v_fmac_f32_e32 v72, 0x3f62ad3f, v32
	v_mul_f32_e32 v108, 0x3eedf032, v81
	v_add_f32_e32 v36, v72, v36
	v_fma_f32 v72, v33, s12, -v108
	v_mul_f32_e32 v103, 0xbf7e222b, v84
	v_add_f32_e32 v37, v72, v37
	v_mov_b32_e32 v72, v103
	v_fmac_f32_e32 v72, 0x3df6dbef, v35
	;; [unrolled: 7-line block ×3, first 2 shown]
	v_mul_f32_e32 v110, 0x3e750f2a, v97
	v_add_f32_e32 v36, v72, v36
	v_fma_f32 v72, v49, s16, -v110
	v_mul_f32_e32 v105, 0x3f52af12, v98
	s_load_dwordx2 s[6:7], s[4:5], 0x20
	s_load_dwordx2 s[2:3], s[4:5], 0x8
	v_add_f32_e32 v37, v72, v37
	v_mov_b32_e32 v72, v105
	v_fmac_f32_e32 v72, 0x3f116cb1, v52
	v_mul_f32_e32 v111, 0x3f52af12, v99
	v_add_f32_e32 v36, v72, v36
	v_fma_f32 v72, v55, s13, -v111
	v_add_f32_e32 v37, v72, v37
	v_mul_lo_u16_e32 v72, 13, v70
	s_waitcnt lgkmcnt(0)
	s_barrier
	s_and_saveexec_b64 s[0:1], vcc
	s_cbranch_execz .LBB0_7
; %bb.6:
	v_mul_f32_e32 v114, 0xbe750f2a, v76
	v_mov_b32_e32 v112, v114
	v_mul_f32_e32 v115, 0x3eedf032, v79
	v_fmac_f32_e32 v112, 0xbf788fa5, v29
	v_mov_b32_e32 v113, v115
	v_add_f32_e32 v112, v112, v5
	v_fmac_f32_e32 v113, 0x3f62ad3f, v31
	v_mul_f32_e32 v116, 0xbf29c268, v81
	v_add_f32_e32 v112, v113, v112
	v_mov_b32_e32 v113, v116
	v_fmac_f32_e32 v113, 0xbf3f9e67, v33
	v_mul_f32_e32 v117, 0x3f52af12, v89
	v_add_f32_e32 v112, v113, v112
	v_mov_b32_e32 v113, v117
	v_fmac_f32_e32 v113, 0x3f116cb1, v44
	v_mul_f32_e32 v118, 0xbf6f5d39, v97
	v_add_f32_e32 v112, v113, v112
	v_mov_b32_e32 v113, v118
	v_fmac_f32_e32 v113, 0xbeb58ec6, v49
	v_mul_f32_e32 v119, 0xbe750f2a, v73
	v_add_f32_e32 v112, v113, v112
	v_fma_f32 v113, v28, s16, -v119
	v_mul_f32_e32 v120, 0x3eedf032, v78
	v_add_f32_e32 v113, v113, v4
	v_fma_f32 v121, v30, s12, -v120
	v_add_f32_e32 v113, v121, v113
	v_mul_f32_e32 v121, 0xbf29c268, v80
	v_fma_f32 v122, v32, s17, -v121
	v_add_f32_e32 v113, v122, v113
	v_mul_f32_e32 v122, 0x3f52af12, v84
	;; [unrolled: 3-line block ×3, first 2 shown]
	v_fma_f32 v124, v47, s15, -v123
	v_mul_f32_e32 v125, 0x3f7e222b, v99
	v_add_f32_e32 v124, v124, v113
	v_mov_b32_e32 v113, v125
	v_fmac_f32_e32 v113, 0x3df6dbef, v55
	v_mul_f32_e32 v126, 0x3f7e222b, v98
	v_add_f32_e32 v113, v113, v112
	v_fma_f32 v112, v52, s14, -v126
	v_mul_f32_e32 v76, 0xbf29c268, v76
	v_add_f32_e32 v112, v112, v124
	v_mov_b32_e32 v124, v76
	v_mul_f32_e32 v127, 0x3f7e222b, v79
	v_fmac_f32_e32 v124, 0xbf3f9e67, v29
	v_mov_b32_e32 v79, v127
	v_add_f32_e32 v124, v124, v5
	v_fmac_f32_e32 v79, 0x3df6dbef, v31
	v_add_f32_e32 v79, v79, v124
	v_mul_f32_e32 v124, 0xbf52af12, v81
	v_mov_b32_e32 v81, v124
	v_fmac_f32_e32 v81, 0x3f116cb1, v33
	v_mul_f32_e32 v89, 0x3e750f2a, v89
	v_add_f32_e32 v79, v81, v79
	v_mov_b32_e32 v81, v89
	v_fmac_f32_e32 v81, 0xbf788fa5, v44
	v_mul_f32_e32 v97, 0x3eedf032, v97
	v_add_f32_e32 v79, v81, v79
	v_mov_b32_e32 v81, v97
	v_fmac_f32_e32 v81, 0x3f62ad3f, v49
	v_mul_f32_e32 v73, 0xbf29c268, v73
	v_add_f32_e32 v79, v81, v79
	v_fma_f32 v81, v28, s17, -v73
	v_mul_f32_e32 v128, 0x3f7e222b, v78
	v_add_f32_e32 v81, v81, v4
	v_fma_f32 v78, v30, s14, -v128
	v_mul_f32_e32 v129, 0xbf52af12, v80
	v_add_f32_e32 v78, v78, v81
	;; [unrolled: 3-line block ×5, first 2 shown]
	v_mov_b32_e32 v80, v99
	v_fmac_f32_e32 v80, 0xbeb58ec6, v55
	v_mul_f32_e32 v98, 0xbf6f5d39, v98
	v_add_f32_e32 v79, v80, v79
	v_fma_f32 v80, v52, s15, -v98
	v_add_f32_e32 v78, v80, v78
	v_mul_f32_e32 v80, 0xbeb58ec6, v29
	v_add_f32_e32 v80, v106, v80
	v_mul_f32_e32 v106, 0xbeb58ec6, v28
	v_mul_f32_e32 v81, 0xbf3f9e67, v31
	v_sub_f32_e32 v100, v106, v100
	v_mul_f32_e32 v106, 0xbf3f9e67, v30
	v_add_f32_e32 v81, v107, v81
	v_add_f32_e32 v80, v80, v5
	v_sub_f32_e32 v101, v106, v101
	v_add_f32_e32 v100, v100, v4
	v_add_f32_e32 v80, v81, v80
	v_mul_f32_e32 v81, 0x3f62ad3f, v33
	v_add_f32_e32 v100, v101, v100
	v_mul_f32_e32 v101, 0x3f62ad3f, v32
	v_add_f32_e32 v81, v108, v81
	v_sub_f32_e32 v101, v101, v102
	v_add_f32_e32 v80, v81, v80
	v_mul_f32_e32 v81, 0x3df6dbef, v44
	v_add_f32_e32 v100, v101, v100
	v_mul_f32_e32 v101, 0x3df6dbef, v35
	v_add_f32_e32 v81, v109, v81
	v_sub_f32_e32 v101, v101, v103
	;; [unrolled: 6-line block ×4, first 2 shown]
	v_add_f32_e32 v81, v81, v80
	v_add_f32_e32 v80, v101, v100
	v_mul_f32_e32 v100, 0x3df6dbef, v29
	v_add_f32_e32 v91, v91, v100
	v_mul_f32_e32 v100, 0xbf788fa5, v31
	v_add_f32_e32 v92, v92, v100
	v_add_f32_e32 v91, v91, v5
	;; [unrolled: 1-line block ×3, first 2 shown]
	v_mul_f32_e32 v92, 0xbeb58ec6, v33
	v_add_f32_e32 v92, v93, v92
	v_add_f32_e32 v91, v92, v91
	v_mul_f32_e32 v92, 0x3f62ad3f, v44
	v_add_f32_e32 v92, v94, v92
	v_add_f32_e32 v91, v92, v91
	;; [unrolled: 3-line block ×3, first 2 shown]
	v_mul_f32_e32 v92, 0xbf3f9e67, v55
	v_add_f32_e32 v92, v96, v92
	v_mul_f32_e32 v96, 0x3df6dbef, v28
	v_sub_f32_e32 v82, v96, v82
	v_mul_f32_e32 v96, 0xbf788fa5, v30
	v_sub_f32_e32 v83, v96, v83
	v_add_f32_e32 v82, v82, v4
	v_add_f32_e32 v82, v83, v82
	v_mul_f32_e32 v83, 0xbeb58ec6, v32
	v_sub_f32_e32 v83, v83, v85
	v_add_f32_e32 v82, v83, v82
	v_mul_f32_e32 v83, 0x3f62ad3f, v35
	v_sub_f32_e32 v83, v83, v86
	v_add_f32_e32 v82, v83, v82
	v_mul_f32_e32 v83, 0x3f116cb1, v47
	v_mul_f32_e32 v95, 0x3f116cb1, v29
	v_sub_f32_e32 v83, v83, v87
	v_mul_f32_e32 v87, 0xbeb58ec6, v31
	v_add_f32_e32 v82, v83, v82
	v_mul_f32_e32 v83, 0xbf3f9e67, v52
	v_add_f32_e32 v51, v51, v95
	v_sub_f32_e32 v88, v83, v88
	v_add_f32_e32 v83, v92, v91
	v_mul_f32_e32 v92, 0xbf788fa5, v33
	v_add_f32_e32 v58, v58, v87
	v_add_f32_e32 v51, v51, v5
	;; [unrolled: 1-line block ×6, first 2 shown]
	v_mul_f32_e32 v58, 0xbf3f9e67, v44
	v_add_f32_e32 v7, v7, v5
	v_add_f32_e32 v6, v12, v6
	;; [unrolled: 1-line block ×6, first 2 shown]
	v_mul_f32_e32 v58, 0x3df6dbef, v49
	v_add_f32_e32 v7, v15, v7
	v_add_f32_e32 v6, v20, v6
	v_mul_f32_e32 v94, 0x3f116cb1, v28
	v_add_f32_e32 v58, v75, v58
	v_add_f32_e32 v7, v21, v7
	v_add_f32_e32 v6, v22, v6
	v_mul_f32_e32 v86, 0xbeb58ec6, v30
	v_add_f32_e32 v51, v58, v51
	v_mul_f32_e32 v58, 0x3f62ad3f, v55
	v_sub_f32_e32 v46, v94, v46
	v_add_f32_e32 v7, v23, v7
	v_add_f32_e32 v6, v8, v6
	v_mul_f32_e32 v91, 0xbf788fa5, v32
	v_add_f32_e32 v58, v77, v58
	v_sub_f32_e32 v53, v86, v53
	v_add_f32_e32 v46, v46, v4
	v_add_f32_e32 v7, v9, v7
	;; [unrolled: 1-line block ×3, first 2 shown]
	v_mul_f32_e32 v60, 0xbf3f9e67, v35
	v_add_f32_e32 v46, v53, v46
	v_add_f32_e32 v58, v58, v51
	v_sub_f32_e32 v51, v91, v57
	v_add_f32_e32 v7, v11, v7
	v_add_f32_e32 v6, v16, v6
	v_mul_f32_e32 v77, 0x3df6dbef, v47
	v_add_f32_e32 v46, v51, v46
	v_sub_f32_e32 v51, v60, v62
	v_add_f32_e32 v7, v17, v7
	v_add_f32_e32 v6, v18, v6
	v_mul_f32_e32 v93, 0x3f62ad3f, v29
	v_mul_f32_e32 v53, 0x3f62ad3f, v52
	v_add_f32_e32 v46, v51, v46
	v_sub_f32_e32 v51, v77, v67
	v_add_f32_e32 v7, v19, v7
	v_add_f32_e32 v6, v24, v6
	v_mul_f32_e32 v85, 0x3f116cb1, v31
	v_add_f32_e32 v46, v51, v46
	v_sub_f32_e32 v51, v53, v74
	v_add_f32_e32 v43, v43, v93
	v_add_f32_e32 v7, v25, v7
	v_add_f32_e32 v6, v26, v6
	v_add_f32_e32 v82, v88, v82
	v_mul_f32_e32 v88, 0x3df6dbef, v33
	v_add_f32_e32 v57, v51, v46
	v_add_f32_e32 v43, v43, v5
	;; [unrolled: 1-line block ×5, first 2 shown]
	v_fma_f32 v6, v29, s16, -v114
	v_mul_f32_e32 v95, 0xbeb58ec6, v44
	v_add_f32_e32 v43, v46, v43
	v_add_f32_e32 v46, v54, v88
	;; [unrolled: 1-line block ×4, first 2 shown]
	v_fma_f32 v7, v31, s12, -v115
	v_mul_f32_e32 v75, 0xbf3f9e67, v49
	v_add_f32_e32 v43, v46, v43
	v_add_f32_e32 v46, v59, v95
	;; [unrolled: 1-line block ×3, first 2 shown]
	v_fma_f32 v7, v33, s17, -v116
	v_mul_f32_e32 v100, 0x3f62ad3f, v28
	v_mul_f32_e32 v86, 0xbf788fa5, v55
	v_add_f32_e32 v43, v46, v43
	v_add_f32_e32 v46, v63, v75
	;; [unrolled: 1-line block ×3, first 2 shown]
	v_fma_f32 v7, v44, s13, -v117
	v_mul_f32_e32 v96, 0x3f116cb1, v30
	v_add_f32_e32 v43, v46, v43
	v_add_f32_e32 v46, v68, v86
	v_sub_f32_e32 v34, v100, v34
	v_add_f32_e32 v6, v7, v6
	v_fma_f32 v7, v49, s15, -v118
	v_fma_f32 v8, v29, s17, -v76
	v_mul_f32_e32 v101, 0x3df6dbef, v32
	v_add_f32_e32 v46, v46, v43
	v_add_f32_e32 v34, v34, v4
	v_sub_f32_e32 v43, v96, v45
	v_add_f32_e32 v6, v7, v6
	v_fma_f32 v7, v55, s14, -v125
	v_fmac_f32_e32 v119, 0xbf788fa5, v28
	v_add_f32_e32 v5, v8, v5
	v_fma_f32 v8, v31, s14, -v127
	v_fmac_f32_e32 v73, 0xbf3f9e67, v28
	v_mul_f32_e32 v87, 0xbeb58ec6, v35
	v_add_f32_e32 v34, v43, v34
	v_sub_f32_e32 v43, v101, v50
	v_add_f32_e32 v7, v7, v6
	v_add_f32_e32 v6, v119, v4
	v_fmac_f32_e32 v120, 0x3f62ad3f, v30
	v_add_f32_e32 v5, v8, v5
	v_fma_f32 v8, v33, s13, -v124
	v_add_f32_e32 v4, v73, v4
	v_fmac_f32_e32 v128, 0x3df6dbef, v30
	v_mul_f32_e32 v65, 0xbf3f9e67, v47
	v_add_f32_e32 v34, v43, v34
	v_sub_f32_e32 v43, v87, v56
	v_add_f32_e32 v6, v120, v6
	v_fmac_f32_e32 v121, 0xbf3f9e67, v32
	v_add_f32_e32 v5, v8, v5
	v_fma_f32 v8, v44, s16, -v89
	v_add_f32_e32 v4, v128, v4
	v_fmac_f32_e32 v129, 0x3f116cb1, v32
	v_mul_f32_e32 v92, 0xbf788fa5, v52
	v_add_f32_e32 v34, v43, v34
	v_sub_f32_e32 v43, v65, v61
	v_add_f32_e32 v6, v121, v6
	v_fmac_f32_e32 v122, 0x3f116cb1, v35
	v_add_f32_e32 v5, v8, v5
	v_fma_f32 v8, v49, s12, -v97
	v_add_f32_e32 v4, v129, v4
	v_fmac_f32_e32 v84, 0xbf788fa5, v35
	v_add_f32_e32 v34, v43, v34
	v_sub_f32_e32 v43, v92, v66
	v_add_f32_e32 v6, v122, v6
	v_fmac_f32_e32 v123, 0xbeb58ec6, v47
	v_add_f32_e32 v5, v8, v5
	v_fma_f32 v8, v55, s15, -v99
	v_add_f32_e32 v4, v84, v4
	v_fmac_f32_e32 v90, 0x3f62ad3f, v47
	v_add_f32_e32 v45, v43, v34
	v_add_f32_e32 v6, v123, v6
	v_fmac_f32_e32 v126, 0x3df6dbef, v52
	v_add_f32_e32 v5, v8, v5
	v_add_f32_e32 v4, v90, v4
	v_fmac_f32_e32 v98, 0xbeb58ec6, v52
	v_add_lshl_u32 v8, v42, v72, 3
	v_add_f32_e32 v6, v126, v6
	v_add_f32_e32 v4, v98, v4
	ds_write2_b64 v8, v[0:1], v[45:46] offset1:1
	ds_write2_b64 v8, v[57:58], v[82:83] offset0:2 offset1:3
	ds_write2_b64 v8, v[80:81], v[78:79] offset0:4 offset1:5
	;; [unrolled: 1-line block ×5, first 2 shown]
	ds_write_b64 v8, v[2:3] offset:96
.LBB0_7:
	s_or_b64 exec, exec, s[0:1]
	v_add_lshl_u32 v74, v42, v70, 3
	v_add_u32_e32 v0, 0x800, v74
	s_waitcnt lgkmcnt(0)
	s_barrier
	ds_read2_b64 v[24:27], v74 offset1:39
	ds_read2_b64 v[20:23], v74 offset0:78 offset1:143
	ds_read2_b64 v[28:31], v0 offset0:30 offset1:69
	;; [unrolled: 1-line block ×3, first 2 shown]
	ds_read_b64 v[0:1], v74 offset:2912
	v_cmp_gt_u16_e64 s[0:1], 26, v70
	s_and_saveexec_b64 s[4:5], s[0:1]
	s_cbranch_execz .LBB0_9
; %bb.8:
	v_add_u32_e32 v4, 0x200, v74
	ds_read2_b64 v[4:7], v4 offset0:53 offset1:196
	ds_read_b64 v[38:39], v74 offset:3224
	s_waitcnt lgkmcnt(1)
	v_mov_b32_e32 v36, v4
	v_mov_b32_e32 v37, v5
	;; [unrolled: 1-line block ×4, first 2 shown]
.LBB0_9:
	s_or_b64 exec, exec, s[4:5]
	s_movk_i32 s4, 0x4f
	v_mul_lo_u16_sdwa v4, v70, s4 dst_sel:DWORD dst_unused:UNUSED_PAD src0_sel:BYTE_0 src1_sel:DWORD
	v_add_u16_e32 v6, 39, v70
	v_lshrrev_b16_e32 v49, 10, v4
	v_mul_lo_u16_sdwa v7, v6, s4 dst_sel:DWORD dst_unused:UNUSED_PAD src0_sel:BYTE_0 src1_sel:DWORD
	v_mul_lo_u16_e32 v4, 13, v49
	v_lshrrev_b16_e32 v51, 10, v7
	v_sub_u16_e32 v50, v70, v4
	v_mov_b32_e32 v4, 4
	v_mul_lo_u16_e32 v7, 13, v51
	v_lshlrev_b32_sdwa v5, v4, v50 dst_sel:DWORD dst_unused:UNUSED_PAD src0_sel:DWORD src1_sel:BYTE_0
	v_sub_u16_e32 v52, v6, v7
	v_lshlrev_b32_sdwa v6, v4, v52 dst_sel:DWORD dst_unused:UNUSED_PAD src0_sel:DWORD src1_sel:BYTE_0
	global_load_dwordx4 v[12:15], v5, s[2:3]
	global_load_dwordx4 v[8:11], v6, s[2:3]
	v_add_u16_e32 v5, 0x4e, v70
	v_mul_lo_u16_sdwa v6, v5, s4 dst_sel:DWORD dst_unused:UNUSED_PAD src0_sel:BYTE_0 src1_sel:DWORD
	v_lshrrev_b16_e32 v53, 10, v6
	v_mul_lo_u16_e32 v6, 13, v53
	v_sub_u16_e32 v54, v5, v6
	v_add_u16_e32 v6, 0x75, v70
	v_mul_lo_u16_sdwa v7, v6, s4 dst_sel:DWORD dst_unused:UNUSED_PAD src0_sel:BYTE_0 src1_sel:DWORD
	v_lshlrev_b32_sdwa v5, v4, v54 dst_sel:DWORD dst_unused:UNUSED_PAD src0_sel:DWORD src1_sel:BYTE_0
	v_lshrrev_b16_e32 v55, 10, v7
	global_load_dwordx4 v[16:19], v5, s[2:3]
	v_mul_lo_u16_e32 v5, 13, v55
	v_sub_u16_e32 v75, v6, v5
	v_lshlrev_b32_sdwa v4, v4, v75 dst_sel:DWORD dst_unused:UNUSED_PAD src0_sel:DWORD src1_sel:BYTE_0
	global_load_dwordx4 v[4:7], v4, s[2:3]
	v_mul_u32_u24_e32 v49, 39, v49
	v_add_u32_sdwa v49, v49, v50 dst_sel:DWORD dst_unused:UNUSED_PAD src0_sel:DWORD src1_sel:BYTE_0
	v_add_lshl_u32 v77, v42, v49, 3
	s_load_dwordx4 s[4:7], s[6:7], 0x0
	s_waitcnt vmcnt(0) lgkmcnt(0)
	s_barrier
	v_mul_u32_u24_e32 v76, 39, v55
	v_mul_f32_e32 v45, v23, v13
	v_mul_f32_e32 v46, v22, v13
	;; [unrolled: 1-line block ×7, first 2 shown]
	v_fma_f32 v45, v22, v12, -v45
	v_fmac_f32_e32 v46, v23, v12
	v_fma_f32 v28, v28, v14, -v47
	v_fmac_f32_e32 v48, v29, v14
	v_mul_f32_e32 v60, v35, v17
	v_mul_f32_e32 v58, v31, v11
	;; [unrolled: 1-line block ×5, first 2 shown]
	v_fma_f32 v29, v32, v8, -v56
	v_fmac_f32_e32 v57, v33, v8
	v_fmac_f32_e32 v59, v31, v10
	v_fma_f32 v56, v34, v16, -v60
	v_add_f32_e32 v31, v45, v28
	v_add_f32_e32 v33, v25, v46
	v_add_f32_e32 v34, v46, v48
	v_mul_f32_e32 v62, v1, v19
	v_mul_f32_e32 v66, v39, v7
	v_fma_f32 v47, v30, v10, -v58
	v_fmac_f32_e32 v61, v35, v16
	v_fmac_f32_e32 v63, v1, v18
	;; [unrolled: 1-line block ×3, first 2 shown]
	v_add_f32_e32 v1, v24, v45
	v_add_f32_e32 v35, v26, v29
	;; [unrolled: 1-line block ×3, first 2 shown]
	v_fma_f32 v32, -0.5, v31, v24
	v_add_f32_e32 v31, v33, v48
	v_fma_f32 v33, -0.5, v34, v25
	v_fma_f32 v0, v0, v18, -v62
	v_sub_f32_e32 v45, v45, v28
	v_add_f32_e32 v30, v1, v28
	v_add_f32_e32 v34, v35, v47
	;; [unrolled: 1-line block ×3, first 2 shown]
	v_mov_b32_e32 v39, v33
	v_add_f32_e32 v1, v20, v56
	v_fmac_f32_e32 v33, 0x3f5db3d7, v45
	v_fmac_f32_e32 v39, 0xbf5db3d7, v45
	v_add_f32_e32 v45, v1, v0
	v_add_f32_e32 v1, v56, v0
	v_mul_f32_e32 v65, v41, v5
	v_fma_f32 v23, v38, v6, -v66
	v_add_f32_e32 v38, v29, v47
	v_fma_f32 v20, -0.5, v1, v20
	v_mul_f32_e32 v43, v40, v5
	v_fma_f32 v22, v40, v4, -v65
	v_add_f32_e32 v40, v57, v59
	v_sub_f32_e32 v29, v29, v47
	v_fma_f32 v26, -0.5, v38, v26
	v_sub_f32_e32 v1, v61, v63
	v_mov_b32_e32 v47, v20
	v_sub_f32_e32 v58, v46, v48
	v_sub_f32_e32 v46, v57, v59
	v_fmac_f32_e32 v27, -0.5, v40
	v_mov_b32_e32 v38, v32
	v_mov_b32_e32 v40, v26
	v_fmac_f32_e32 v47, 0x3f5db3d7, v1
	v_fmac_f32_e32 v20, 0xbf5db3d7, v1
	v_add_f32_e32 v1, v21, v61
	v_fmac_f32_e32 v26, 0xbf5db3d7, v46
	v_fmac_f32_e32 v38, 0x3f5db3d7, v58
	;; [unrolled: 1-line block ×3, first 2 shown]
	v_add_f32_e32 v46, v1, v63
	v_add_f32_e32 v1, v61, v63
	v_fmac_f32_e32 v32, 0xbf5db3d7, v58
	v_fmac_f32_e32 v21, -0.5, v1
	ds_write2_b64 v77, v[30:31], v[38:39] offset1:13
	ds_write_b64 v77, v[32:33] offset:208
	v_mul_u32_u24_e32 v30, 39, v51
	v_fmac_f32_e32 v43, v41, v4
	v_mov_b32_e32 v41, v27
	v_sub_f32_e32 v0, v56, v0
	v_mov_b32_e32 v48, v21
	v_add_u32_sdwa v30, v30, v52 dst_sel:DWORD dst_unused:UNUSED_PAD src0_sel:DWORD src1_sel:BYTE_0
	v_fmac_f32_e32 v41, 0xbf5db3d7, v29
	v_fmac_f32_e32 v48, 0xbf5db3d7, v0
	;; [unrolled: 1-line block ×3, first 2 shown]
	v_add_f32_e32 v0, v22, v23
	v_add_f32_e32 v1, v43, v44
	v_add_lshl_u32 v78, v42, v30, 3
	v_fmac_f32_e32 v27, 0x3f5db3d7, v29
	v_fma_f32 v24, -0.5, v0, v36
	v_fma_f32 v28, -0.5, v1, v37
	ds_write2_b64 v78, v[34:35], v[40:41] offset1:13
	ds_write_b64 v78, v[26:27] offset:208
	v_mul_u32_u24_e32 v26, 39, v53
	v_sub_f32_e32 v25, v43, v44
	v_mov_b32_e32 v0, v24
	v_sub_f32_e32 v29, v22, v23
	v_mov_b32_e32 v1, v28
	v_add_u32_sdwa v26, v26, v54 dst_sel:DWORD dst_unused:UNUSED_PAD src0_sel:DWORD src1_sel:BYTE_0
	v_fmac_f32_e32 v0, 0xbf5db3d7, v25
	v_fmac_f32_e32 v1, 0x3f5db3d7, v29
	v_add_lshl_u32 v79, v42, v26, 3
	ds_write2_b64 v79, v[45:46], v[47:48] offset1:13
	ds_write_b64 v79, v[20:21] offset:208
	s_and_saveexec_b64 s[12:13], s[0:1]
	s_cbranch_execz .LBB0_11
; %bb.10:
	v_mul_f32_e32 v20, 0x3f5db3d7, v25
	v_add_f32_e32 v22, v36, v22
	v_mul_f32_e32 v21, 0x3f5db3d7, v29
	v_add_f32_e32 v25, v37, v43
	v_add_f32_e32 v20, v20, v24
	v_add_f32_e32 v24, v22, v23
	v_add_u32_sdwa v22, v76, v75 dst_sel:DWORD dst_unused:UNUSED_PAD src0_sel:DWORD src1_sel:BYTE_0
	v_sub_f32_e32 v21, v28, v21
	v_add_f32_e32 v25, v25, v44
	v_add_lshl_u32 v22, v42, v22, 3
	ds_write2_b64 v22, v[24:25], v[20:21] offset1:13
	ds_write_b64 v22, v[0:1] offset:208
.LBB0_11:
	s_or_b64 exec, exec, s[12:13]
	v_mov_b32_e32 v21, s3
	s_movk_i32 s12, 0x50
	v_mov_b32_e32 v20, s2
	v_mad_u64_u32 v[40:41], s[2:3], v70, s12, v[20:21]
	s_waitcnt lgkmcnt(0)
	s_barrier
	global_load_dwordx4 v[32:35], v[40:41], off offset:208
	global_load_dwordx4 v[28:31], v[40:41], off offset:224
	;; [unrolled: 1-line block ×5, first 2 shown]
	ds_read2_b64 v[40:43], v74 offset1:39
	ds_read_b64 v[60:61], v74 offset:624
	ds_read2_b64 v[44:47], v74 offset0:117 offset1:156
	ds_read2_b64 v[48:51], v74 offset0:195 offset1:234
	v_add_u32_e32 v56, 0x800, v74
	ds_read2_b64 v[52:55], v56 offset0:17 offset1:56
	ds_read2_b64 v[56:59], v56 offset0:95 offset1:134
	s_mov_b32 s3, 0x3f575c64
	s_mov_b32 s2, 0x3ed4b147
	;; [unrolled: 1-line block ×5, first 2 shown]
	s_waitcnt vmcnt(4) lgkmcnt(5)
	v_mul_f32_e32 v62, v43, v33
	v_mul_f32_e32 v63, v42, v33
	s_waitcnt lgkmcnt(4)
	v_mul_f32_e32 v65, v61, v35
	s_waitcnt vmcnt(3) lgkmcnt(3)
	v_mul_f32_e32 v68, v44, v29
	v_mul_f32_e32 v73, v47, v31
	s_waitcnt vmcnt(2) lgkmcnt(2)
	v_mul_f32_e32 v81, v49, v25
	s_waitcnt vmcnt(1) lgkmcnt(1)
	v_mul_f32_e32 v85, v53, v21
	v_fma_f32 v42, v42, v32, -v62
	v_mul_f32_e32 v67, v60, v35
	v_mul_f32_e32 v66, v45, v29
	;; [unrolled: 1-line block ×5, first 2 shown]
	v_fmac_f32_e32 v63, v43, v32
	v_fma_f32 v43, v60, v34, -v65
	v_fmac_f32_e32 v68, v45, v28
	v_fma_f32 v45, v46, v30, -v73
	v_fma_f32 v46, v48, v24, -v81
	;; [unrolled: 1-line block ×3, first 2 shown]
	v_add_f32_e32 v52, v40, v42
	v_fmac_f32_e32 v67, v61, v34
	v_fma_f32 v44, v44, v28, -v66
	v_fmac_f32_e32 v86, v53, v20
	v_add_f32_e32 v53, v41, v63
	v_add_f32_e32 v52, v52, v43
	;; [unrolled: 1-line block ×4, first 2 shown]
	v_mul_f32_e32 v83, v51, v27
	v_fmac_f32_e32 v80, v47, v30
	v_add_f32_e32 v53, v53, v68
	v_add_f32_e32 v52, v52, v45
	v_mul_f32_e32 v84, v50, v27
	v_fmac_f32_e32 v82, v49, v24
	v_fma_f32 v47, v50, v26, -v83
	v_add_f32_e32 v53, v53, v80
	v_add_f32_e32 v52, v52, v46
	v_mul_f32_e32 v87, v55, v23
	v_fmac_f32_e32 v84, v51, v26
	v_add_f32_e32 v53, v53, v82
	v_add_f32_e32 v52, v52, v47
	v_mul_f32_e32 v88, v54, v23
	s_waitcnt vmcnt(0) lgkmcnt(0)
	v_mul_f32_e32 v89, v57, v37
	v_mul_f32_e32 v91, v59, v39
	v_fma_f32 v49, v54, v22, -v87
	v_add_f32_e32 v53, v53, v84
	v_add_f32_e32 v52, v52, v48
	v_mul_f32_e32 v90, v56, v37
	v_fmac_f32_e32 v88, v55, v22
	v_fma_f32 v50, v56, v36, -v89
	v_fma_f32 v51, v58, v38, -v91
	v_add_f32_e32 v53, v53, v86
	v_add_f32_e32 v52, v52, v49
	v_mul_f32_e32 v92, v58, v39
	v_fmac_f32_e32 v90, v57, v36
	v_add_f32_e32 v54, v42, v51
	v_sub_f32_e32 v42, v42, v51
	v_add_f32_e32 v53, v53, v88
	v_add_f32_e32 v52, v52, v50
	v_fmac_f32_e32 v92, v59, v38
	v_mul_f32_e32 v58, 0xbf0a6770, v42
	v_add_f32_e32 v53, v53, v90
	v_add_f32_e32 v65, v52, v51
	v_mul_f32_e32 v52, 0xbf68dda4, v42
	v_mul_f32_e32 v73, 0xbf7d64f0, v42
	v_mul_f32_e32 v87, 0xbf4178ce, v42
	v_mul_f32_e32 v42, 0xbe903f40, v42
	v_add_f32_e32 v55, v63, v92
	v_sub_f32_e32 v56, v63, v92
	v_mov_b32_e32 v61, v58
	v_add_f32_e32 v66, v53, v92
	v_mov_b32_e32 v53, v52
	v_mov_b32_e32 v81, v73
	;; [unrolled: 1-line block ×4, first 2 shown]
	v_fma_f32 v58, v55, s3, -v58
	v_fmac_f32_e32 v61, 0x3f575c64, v55
	v_fmac_f32_e32 v53, 0x3ed4b147, v55
	v_fma_f32 v52, v55, s2, -v52
	v_fmac_f32_e32 v81, 0xbe11bafb, v55
	v_fma_f32 v73, v55, s12, -v73
	v_fmac_f32_e32 v89, 0xbf27a4f4, v55
	v_fma_f32 v87, v55, s13, -v87
	v_fmac_f32_e32 v92, 0xbf75a155, v55
	v_fma_f32 v42, v55, s14, -v42
	v_mul_f32_e32 v57, 0xbf0a6770, v56
	v_mul_f32_e32 v59, 0xbf68dda4, v56
	v_add_f32_e32 v58, v41, v58
	v_add_f32_e32 v61, v41, v61
	;; [unrolled: 1-line block ×4, first 2 shown]
	v_mul_f32_e32 v62, 0xbf7d64f0, v56
	v_add_f32_e32 v81, v41, v81
	v_add_f32_e32 v73, v41, v73
	v_mul_f32_e32 v83, 0xbf4178ce, v56
	v_add_f32_e32 v89, v41, v89
	v_add_f32_e32 v87, v41, v87
	v_mul_f32_e32 v56, 0xbe903f40, v56
	v_add_f32_e32 v92, v41, v92
	v_add_f32_e32 v41, v41, v42
	v_add_f32_e32 v42, v43, v50
	v_sub_f32_e32 v43, v43, v50
	v_sub_f32_e32 v50, v67, v90
	v_fma_f32 v60, v54, s3, -v57
	v_fmac_f32_e32 v57, 0x3f575c64, v54
	v_fma_f32 v51, v54, s2, -v59
	v_fmac_f32_e32 v59, 0x3ed4b147, v54
	;; [unrolled: 2-line block ×5, first 2 shown]
	v_mul_f32_e32 v55, 0xbf68dda4, v50
	v_add_f32_e32 v60, v40, v60
	v_add_f32_e32 v57, v40, v57
	;; [unrolled: 1-line block ×10, first 2 shown]
	v_fma_f32 v56, v42, s2, -v55
	v_add_f32_e32 v54, v67, v90
	v_add_f32_e32 v56, v56, v60
	v_mul_f32_e32 v60, 0xbf68dda4, v43
	v_fmac_f32_e32 v55, 0x3ed4b147, v42
	v_add_f32_e32 v55, v55, v57
	v_fma_f32 v57, v54, s2, -v60
	v_add_f32_e32 v57, v57, v58
	v_mul_f32_e32 v58, 0xbf4178ce, v50
	v_mov_b32_e32 v67, v60
	v_fma_f32 v60, v42, s13, -v58
	v_add_f32_e32 v51, v60, v51
	v_mul_f32_e32 v60, 0xbf4178ce, v43
	v_fmac_f32_e32 v58, 0xbf27a4f4, v42
	v_add_f32_e32 v58, v58, v59
	v_fma_f32 v59, v54, s13, -v60
	v_fmac_f32_e32 v67, 0x3ed4b147, v54
	v_add_f32_e32 v52, v59, v52
	v_mul_f32_e32 v59, 0x3e903f40, v50
	v_add_f32_e32 v61, v67, v61
	v_mov_b32_e32 v67, v60
	v_fma_f32 v60, v42, s14, -v59
	v_fmac_f32_e32 v67, 0xbf27a4f4, v54
	v_add_f32_e32 v60, v60, v63
	v_mul_f32_e32 v63, 0x3e903f40, v43
	v_add_f32_e32 v53, v67, v53
	v_mov_b32_e32 v67, v63
	v_fmac_f32_e32 v59, 0xbf75a155, v42
	v_fmac_f32_e32 v67, 0xbf75a155, v54
	v_add_f32_e32 v59, v59, v62
	v_fma_f32 v62, v54, s14, -v63
	v_mul_f32_e32 v63, 0x3f7d64f0, v50
	v_add_f32_e32 v67, v67, v81
	v_add_f32_e32 v62, v62, v73
	v_fma_f32 v73, v42, s12, -v63
	v_mul_f32_e32 v81, 0x3f7d64f0, v43
	v_fmac_f32_e32 v63, 0xbe11bafb, v42
	v_mul_f32_e32 v50, 0x3f0a6770, v50
	v_mul_f32_e32 v43, 0x3f0a6770, v43
	v_add_f32_e32 v63, v63, v83
	v_fma_f32 v83, v42, s3, -v50
	v_fmac_f32_e32 v50, 0x3f575c64, v42
	v_fma_f32 v42, v54, s3, -v43
	v_add_f32_e32 v73, v73, v85
	v_mov_b32_e32 v85, v81
	v_fma_f32 v81, v54, s12, -v81
	v_add_f32_e32 v41, v42, v41
	v_add_f32_e32 v42, v44, v49
	v_sub_f32_e32 v44, v44, v49
	v_sub_f32_e32 v49, v68, v88
	v_add_f32_e32 v81, v81, v87
	v_mov_b32_e32 v87, v43
	v_add_f32_e32 v40, v50, v40
	v_mul_f32_e32 v50, 0xbf7d64f0, v49
	v_fmac_f32_e32 v85, 0xbe11bafb, v54
	v_fmac_f32_e32 v87, 0x3f575c64, v54
	v_fma_f32 v54, v42, s12, -v50
	v_add_f32_e32 v43, v68, v88
	v_add_f32_e32 v54, v54, v56
	v_mul_f32_e32 v56, 0xbf7d64f0, v44
	v_fmac_f32_e32 v50, 0xbe11bafb, v42
	v_mov_b32_e32 v68, v56
	v_add_f32_e32 v50, v50, v55
	v_fma_f32 v55, v43, s12, -v56
	v_mul_f32_e32 v56, 0x3e903f40, v49
	v_add_f32_e32 v55, v55, v57
	v_fma_f32 v57, v42, s14, -v56
	v_fmac_f32_e32 v68, 0xbe11bafb, v43
	v_add_f32_e32 v51, v57, v51
	v_mul_f32_e32 v57, 0x3e903f40, v44
	v_add_f32_e32 v61, v68, v61
	v_mov_b32_e32 v68, v57
	v_fma_f32 v57, v43, s14, -v57
	v_fmac_f32_e32 v56, 0xbf75a155, v42
	v_add_f32_e32 v52, v57, v52
	v_mul_f32_e32 v57, 0x3f68dda4, v49
	v_add_f32_e32 v56, v56, v58
	v_fma_f32 v58, v42, s2, -v57
	v_fmac_f32_e32 v68, 0xbf75a155, v43
	v_add_f32_e32 v58, v58, v60
	v_mul_f32_e32 v60, 0x3f68dda4, v44
	v_add_f32_e32 v53, v68, v53
	v_mov_b32_e32 v68, v60
	v_fmac_f32_e32 v57, 0x3ed4b147, v42
	v_fmac_f32_e32 v68, 0x3ed4b147, v43
	v_add_f32_e32 v57, v57, v59
	v_fma_f32 v59, v43, s2, -v60
	v_mul_f32_e32 v60, 0xbf0a6770, v49
	v_add_f32_e32 v67, v68, v67
	v_add_f32_e32 v59, v59, v62
	v_fma_f32 v62, v42, s3, -v60
	v_mul_f32_e32 v68, 0xbf0a6770, v44
	v_fmac_f32_e32 v60, 0x3f575c64, v42
	v_mul_f32_e32 v49, 0xbf4178ce, v49
	v_mul_f32_e32 v44, 0xbf4178ce, v44
	v_add_f32_e32 v62, v62, v73
	v_mov_b32_e32 v73, v68
	v_add_f32_e32 v60, v60, v63
	v_fma_f32 v63, v43, s3, -v68
	v_fma_f32 v68, v42, s13, -v49
	v_fmac_f32_e32 v49, 0xbf27a4f4, v42
	v_fma_f32 v42, v43, s13, -v44
	v_add_f32_e32 v63, v63, v81
	v_mov_b32_e32 v81, v44
	v_add_f32_e32 v41, v42, v41
	v_add_f32_e32 v42, v45, v48
	v_sub_f32_e32 v44, v45, v48
	v_sub_f32_e32 v45, v80, v86
	v_mul_f32_e32 v48, 0xbf4178ce, v45
	v_add_f32_e32 v40, v49, v40
	v_fma_f32 v49, v42, s13, -v48
	v_fmac_f32_e32 v73, 0x3f575c64, v43
	v_fmac_f32_e32 v81, 0xbf27a4f4, v43
	v_add_f32_e32 v43, v80, v86
	v_add_f32_e32 v49, v49, v54
	v_mul_f32_e32 v54, 0xbf4178ce, v44
	v_fmac_f32_e32 v48, 0xbf27a4f4, v42
	v_add_f32_e32 v48, v48, v50
	v_fma_f32 v50, v43, s13, -v54
	v_mov_b32_e32 v80, v54
	v_add_f32_e32 v54, v50, v55
	v_mul_f32_e32 v50, 0x3f7d64f0, v45
	v_fma_f32 v55, v42, s12, -v50
	v_add_f32_e32 v55, v55, v51
	v_mul_f32_e32 v51, 0x3f7d64f0, v44
	v_fmac_f32_e32 v50, 0xbe11bafb, v42
	v_add_f32_e32 v56, v50, v56
	v_fma_f32 v50, v43, s12, -v51
	v_fmac_f32_e32 v80, 0xbf27a4f4, v43
	v_add_f32_e32 v52, v50, v52
	v_mul_f32_e32 v50, 0xbf0a6770, v45
	v_add_f32_e32 v61, v80, v61
	v_mov_b32_e32 v80, v51
	v_fma_f32 v51, v42, s3, -v50
	v_add_f32_e32 v58, v51, v58
	v_mul_f32_e32 v51, 0xbf0a6770, v44
	v_fmac_f32_e32 v50, 0x3f575c64, v42
	v_add_f32_e32 v57, v50, v57
	v_fma_f32 v50, v43, s3, -v51
	v_fmac_f32_e32 v80, 0xbe11bafb, v43
	v_add_f32_e32 v59, v50, v59
	v_mul_f32_e32 v50, 0xbe903f40, v45
	v_add_f32_e32 v53, v80, v53
	v_mov_b32_e32 v80, v51
	v_fma_f32 v51, v42, s14, -v50
	v_add_f32_e32 v62, v51, v62
	v_mul_f32_e32 v51, 0xbe903f40, v44
	v_fmac_f32_e32 v50, 0xbf75a155, v42
	v_add_f32_e32 v83, v83, v91
	v_add_f32_e32 v60, v50, v60
	v_fma_f32 v50, v43, s14, -v51
	v_mul_f32_e32 v45, 0x3f68dda4, v45
	v_add_f32_e32 v68, v68, v83
	v_fmac_f32_e32 v80, 0x3f575c64, v43
	v_add_f32_e32 v63, v50, v63
	v_fma_f32 v50, v42, s2, -v45
	v_mul_f32_e32 v44, 0x3f68dda4, v44
	v_add_f32_e32 v85, v85, v89
	v_add_f32_e32 v87, v87, v92
	;; [unrolled: 1-line block ×3, first 2 shown]
	v_mov_b32_e32 v80, v51
	v_add_f32_e32 v68, v50, v68
	v_mov_b32_e32 v50, v44
	v_add_f32_e32 v73, v73, v85
	v_add_f32_e32 v81, v81, v87
	v_fmac_f32_e32 v80, 0xbf75a155, v43
	v_fmac_f32_e32 v50, 0x3ed4b147, v43
	;; [unrolled: 1-line block ×3, first 2 shown]
	v_add_f32_e32 v86, v82, v84
	v_sub_f32_e32 v82, v82, v84
	v_add_f32_e32 v73, v80, v73
	v_add_f32_e32 v80, v50, v81
	;; [unrolled: 1-line block ×3, first 2 shown]
	v_fma_f32 v40, v43, s2, -v44
	v_add_f32_e32 v85, v46, v47
	v_sub_f32_e32 v87, v46, v47
	v_mul_f32_e32 v42, 0xbe903f40, v82
	v_add_f32_e32 v83, v40, v41
	v_fma_f32 v40, v85, s14, -v42
	v_mul_f32_e32 v43, 0xbe903f40, v87
	v_fmac_f32_e32 v42, 0xbf75a155, v85
	v_add_f32_e32 v50, v42, v48
	v_fma_f32 v42, v86, s14, -v43
	v_mul_f32_e32 v44, 0x3f0a6770, v82
	v_add_f32_e32 v51, v42, v54
	v_fma_f32 v42, v85, s3, -v44
	v_mul_f32_e32 v45, 0x3f0a6770, v87
	v_fmac_f32_e32 v44, 0x3f575c64, v85
	v_mov_b32_e32 v41, v43
	v_mov_b32_e32 v43, v45
	v_add_f32_e32 v48, v44, v56
	v_fma_f32 v44, v86, s3, -v45
	v_mul_f32_e32 v46, 0xbf4178ce, v82
	v_add_f32_e32 v40, v40, v49
	v_fmac_f32_e32 v43, 0x3f575c64, v86
	v_add_f32_e32 v49, v44, v52
	v_fma_f32 v44, v85, s13, -v46
	v_mul_f32_e32 v47, 0xbf4178ce, v87
	v_fmac_f32_e32 v46, 0xbf27a4f4, v85
	v_add_f32_e32 v43, v43, v53
	v_add_f32_e32 v54, v46, v57
	v_fma_f32 v46, v86, s13, -v47
	v_mul_f32_e32 v53, 0x3f68dda4, v87
	v_add_f32_e32 v42, v42, v55
	v_mov_b32_e32 v45, v47
	v_add_f32_e32 v55, v46, v59
	v_mov_b32_e32 v47, v53
	v_mul_f32_e32 v59, 0xbf7d64f0, v87
	v_add_f32_e32 v44, v44, v58
	v_mul_f32_e32 v52, 0x3f68dda4, v82
	v_fmac_f32_e32 v47, 0x3ed4b147, v86
	v_mul_f32_e32 v58, 0xbf7d64f0, v82
	v_mov_b32_e32 v57, v59
	v_fmac_f32_e32 v41, 0xbf75a155, v86
	v_fmac_f32_e32 v45, 0xbf27a4f4, v86
	v_fma_f32 v46, v85, s2, -v52
	v_add_f32_e32 v47, v47, v73
	v_fmac_f32_e32 v52, 0x3ed4b147, v85
	v_fma_f32 v53, v86, s2, -v53
	v_fma_f32 v56, v85, s12, -v58
	v_fmac_f32_e32 v57, 0xbe11bafb, v86
	v_fmac_f32_e32 v58, 0xbe11bafb, v85
	v_fma_f32 v59, v86, s12, -v59
	v_lshl_add_u32 v73, v70, 3, v71
	v_add_f32_e32 v41, v41, v61
	v_add_f32_e32 v45, v45, v67
	v_add_f32_e32 v46, v46, v62
	v_add_f32_e32 v52, v52, v60
	v_add_f32_e32 v53, v53, v63
	v_add_f32_e32 v56, v56, v68
	v_add_f32_e32 v57, v57, v80
	v_add_f32_e32 v58, v58, v81
	v_add_f32_e32 v59, v59, v83
	v_add_u32_e32 v60, 0x800, v73
	ds_write_b64 v73, v[65:66]
	ds_write2_b64 v73, v[40:41], v[42:43] offset0:39 offset1:78
	ds_write2_b64 v73, v[44:45], v[46:47] offset0:117 offset1:156
	ds_write2_b64 v73, v[56:57], v[58:59] offset0:195 offset1:234
	ds_write2_b64 v60, v[52:53], v[54:55] offset0:17 offset1:56
	ds_write2_b64 v60, v[48:49], v[50:51] offset0:95 offset1:134
	s_waitcnt lgkmcnt(0)
	s_barrier
	s_and_saveexec_b64 s[2:3], vcc
	s_cbranch_execz .LBB0_13
; %bb.12:
	global_load_dwordx2 v[61:62], v69, s[8:9] offset:3432
	s_add_u32 s12, s8, 0xd68
	s_addc_u32 s13, s9, 0
	global_load_dwordx2 v[67:68], v69, s[12:13] offset:264
	global_load_dwordx2 v[104:105], v69, s[12:13] offset:528
	;; [unrolled: 1-line block ×12, first 2 shown]
	ds_read_b64 v[80:81], v73
	v_add_u32_e32 v126, 0x400, v73
	s_waitcnt vmcnt(12) lgkmcnt(0)
	v_mul_f32_e32 v82, v81, v62
	v_mul_f32_e32 v63, v80, v62
	v_fma_f32 v62, v80, v61, -v82
	v_fmac_f32_e32 v63, v81, v61
	ds_write_b64 v73, v[62:63]
	ds_read2_b64 v[80:83], v73 offset0:33 offset1:66
	ds_read2_b64 v[84:87], v73 offset0:99 offset1:132
	;; [unrolled: 1-line block ×6, first 2 shown]
	s_waitcnt vmcnt(11) lgkmcnt(5)
	v_mul_f32_e32 v61, v81, v68
	v_mul_f32_e32 v62, v80, v68
	s_waitcnt vmcnt(10)
	v_mul_f32_e32 v63, v83, v105
	v_mul_f32_e32 v68, v82, v105
	s_waitcnt vmcnt(9) lgkmcnt(4)
	v_mul_f32_e32 v127, v85, v107
	v_mul_f32_e32 v105, v84, v107
	s_waitcnt vmcnt(8)
	v_mul_f32_e32 v128, v87, v109
	v_mul_f32_e32 v107, v86, v109
	;; [unrolled: 6-line block ×6, first 2 shown]
	v_fma_f32 v61, v80, v67, -v61
	v_fmac_f32_e32 v62, v81, v67
	v_fma_f32 v67, v82, v104, -v63
	v_fmac_f32_e32 v68, v83, v104
	;; [unrolled: 2-line block ×12, first 2 shown]
	ds_write2_b64 v73, v[61:62], v[67:68] offset0:33 offset1:66
	ds_write2_b64 v73, v[104:105], v[106:107] offset0:99 offset1:132
	;; [unrolled: 1-line block ×6, first 2 shown]
.LBB0_13:
	s_or_b64 exec, exec, s[2:3]
	s_waitcnt lgkmcnt(0)
	s_barrier
	s_and_saveexec_b64 s[2:3], vcc
	s_cbranch_execz .LBB0_15
; %bb.14:
	ds_read_b64 v[65:66], v73
	ds_read2_b64 v[40:43], v73 offset0:33 offset1:66
	ds_read2_b64 v[44:47], v73 offset0:99 offset1:132
	;; [unrolled: 1-line block ×3, first 2 shown]
	v_add_u32_e32 v0, 0x400, v73
	ds_read2_b64 v[52:55], v0 offset0:103 offset1:136
	v_add_u32_e32 v0, 0x800, v73
	ds_read2_b64 v[48:51], v0 offset0:41 offset1:74
	ds_read2_b64 v[0:3], v0 offset0:107 offset1:140
.LBB0_15:
	s_or_b64 exec, exec, s[2:3]
	s_waitcnt lgkmcnt(0)
	v_sub_f32_e32 v91, v41, v3
	v_add_f32_e32 v80, v2, v40
	v_add_f32_e32 v93, v3, v41
	s_mov_b32 s12, 0x3f116cb1
	v_mul_f32_e32 v95, 0xbf52af12, v91
	v_sub_f32_e32 v94, v43, v1
	v_mul_f32_e32 v98, 0x3f116cb1, v93
	v_fma_f32 v60, v80, s12, -v95
	s_mov_b32 s14, 0xbeb58ec6
	v_add_f32_e32 v82, v0, v42
	v_add_f32_e32 v96, v1, v43
	v_mul_f32_e32 v99, 0xbf6f5d39, v94
	v_sub_f32_e32 v81, v40, v2
	v_add_f32_e32 v60, v65, v60
	v_mov_b32_e32 v61, v98
	v_mul_f32_e32 v103, 0xbeb58ec6, v96
	v_fma_f32 v84, v82, s14, -v99
	v_fmac_f32_e32 v61, 0xbf52af12, v81
	s_mov_b32 s13, 0x3df6dbef
	v_mul_f32_e32 v102, 0xbf7e222b, v91
	v_sub_f32_e32 v83, v42, v0
	v_add_f32_e32 v60, v84, v60
	v_mov_b32_e32 v84, v103
	v_add_f32_e32 v61, v66, v61
	v_mul_f32_e32 v104, 0x3df6dbef, v93
	v_fma_f32 v62, v80, s13, -v102
	v_fmac_f32_e32 v84, 0xbf6f5d39, v83
	s_mov_b32 s15, 0xbf788fa5
	v_mul_f32_e32 v108, 0xbe750f2a, v94
	v_add_f32_e32 v62, v65, v62
	v_mov_b32_e32 v63, v104
	v_add_f32_e32 v61, v84, v61
	v_mul_f32_e32 v111, 0xbf788fa5, v96
	v_fma_f32 v84, v82, s15, -v108
	v_fmac_f32_e32 v63, 0xbf7e222b, v81
	v_mul_f32_e32 v110, 0xbf6f5d39, v91
	v_add_f32_e32 v62, v84, v62
	v_mov_b32_e32 v84, v111
	v_add_f32_e32 v63, v66, v63
	v_mul_f32_e32 v115, 0xbeb58ec6, v93
	v_fma_f32 v67, v80, s14, -v110
	v_fmac_f32_e32 v84, 0xbe750f2a, v83
	s_mov_b32 s16, 0xbf3f9e67
	v_mul_f32_e32 v118, 0x3f29c268, v94
	v_add_f32_e32 v67, v65, v67
	v_mov_b32_e32 v68, v115
	v_add_f32_e32 v63, v84, v63
	v_mul_f32_e32 v122, 0xbf3f9e67, v96
	v_fma_f32 v84, v82, s16, -v118
	v_fmac_f32_e32 v68, 0xbf6f5d39, v81
	v_add_f32_e32 v67, v84, v67
	v_mov_b32_e32 v84, v122
	v_add_f32_e32 v68, v66, v68
	v_fmac_f32_e32 v84, 0x3f29c268, v83
	v_sub_f32_e32 v97, v45, v51
	v_add_f32_e32 v68, v84, v68
	v_add_f32_e32 v84, v50, v44
	;; [unrolled: 1-line block ×3, first 2 shown]
	v_mul_f32_e32 v105, 0xbe750f2a, v97
	v_mul_f32_e32 v109, 0xbf788fa5, v100
	v_fma_f32 v86, v84, s15, -v105
	v_sub_f32_e32 v85, v44, v50
	v_add_f32_e32 v60, v86, v60
	v_mov_b32_e32 v86, v109
	v_fmac_f32_e32 v86, 0xbe750f2a, v85
	v_mul_f32_e32 v116, 0x3f6f5d39, v97
	v_add_f32_e32 v61, v86, v61
	v_mul_f32_e32 v119, 0xbeb58ec6, v100
	v_fma_f32 v86, v84, s14, -v116
	v_add_f32_e32 v62, v86, v62
	v_mov_b32_e32 v86, v119
	v_fmac_f32_e32 v86, 0x3f6f5d39, v85
	s_mov_b32 s17, 0x3f62ad3f
	v_mul_f32_e32 v125, 0x3eedf032, v97
	v_add_f32_e32 v63, v86, v63
	v_mul_f32_e32 v128, 0x3f62ad3f, v100
	v_fma_f32 v86, v84, s17, -v125
	v_add_f32_e32 v67, v86, v67
	v_mov_b32_e32 v86, v128
	v_fmac_f32_e32 v86, 0x3eedf032, v85
	v_sub_f32_e32 v101, v47, v49
	v_add_f32_e32 v68, v86, v68
	v_add_f32_e32 v86, v48, v46
	;; [unrolled: 1-line block ×3, first 2 shown]
	v_mul_f32_e32 v113, 0x3f29c268, v101
	v_mul_f32_e32 v117, 0xbf3f9e67, v107
	v_fma_f32 v88, v86, s16, -v113
	v_sub_f32_e32 v87, v46, v48
	v_add_f32_e32 v60, v88, v60
	v_mov_b32_e32 v88, v117
	v_fmac_f32_e32 v88, 0x3f29c268, v87
	v_mul_f32_e32 v123, 0x3eedf032, v101
	v_add_f32_e32 v61, v88, v61
	v_mul_f32_e32 v126, 0x3f62ad3f, v107
	v_fma_f32 v88, v86, s17, -v123
	v_add_f32_e32 v62, v88, v62
	v_mov_b32_e32 v88, v126
	v_fmac_f32_e32 v88, 0x3eedf032, v87
	v_mul_f32_e32 v131, 0xbf7e222b, v101
	v_add_f32_e32 v63, v88, v63
	v_mul_f32_e32 v133, 0x3df6dbef, v107
	v_fma_f32 v88, v86, s13, -v131
	v_add_f32_e32 v67, v88, v67
	v_mov_b32_e32 v88, v133
	v_fmac_f32_e32 v88, 0xbf7e222b, v87
	v_sub_f32_e32 v106, v57, v55
	v_add_f32_e32 v68, v88, v68
	v_add_f32_e32 v88, v54, v56
	;; [unrolled: 1-line block ×3, first 2 shown]
	v_mul_f32_e32 v121, 0x3f7e222b, v106
	v_mul_f32_e32 v124, 0x3df6dbef, v114
	v_fma_f32 v90, v88, s13, -v121
	v_sub_f32_e32 v89, v56, v54
	v_add_f32_e32 v60, v90, v60
	v_mov_b32_e32 v90, v124
	v_fmac_f32_e32 v90, 0x3f7e222b, v89
	v_mul_f32_e32 v129, 0xbf52af12, v106
	v_add_f32_e32 v61, v90, v61
	v_mul_f32_e32 v132, 0x3f116cb1, v114
	v_fma_f32 v90, v88, s12, -v129
	v_add_f32_e32 v138, v90, v62
	v_mov_b32_e32 v62, v132
	v_fmac_f32_e32 v62, 0xbf52af12, v89
	v_mul_f32_e32 v135, 0x3e750f2a, v106
	v_add_f32_e32 v139, v62, v63
	v_mul_f32_e32 v137, 0xbf788fa5, v114
	v_fma_f32 v62, v88, s15, -v135
	v_add_f32_e32 v67, v62, v67
	v_mov_b32_e32 v62, v137
	v_sub_f32_e32 v112, v59, v53
	v_fmac_f32_e32 v62, 0x3e750f2a, v89
	v_add_f32_e32 v90, v52, v58
	v_add_f32_e32 v120, v53, v59
	v_mul_f32_e32 v127, 0x3eedf032, v112
	v_add_f32_e32 v68, v62, v68
	v_mul_f32_e32 v130, 0x3f62ad3f, v120
	v_fma_f32 v62, v90, s17, -v127
	v_sub_f32_e32 v92, v58, v52
	v_add_f32_e32 v62, v62, v60
	v_mov_b32_e32 v60, v130
	v_fmac_f32_e32 v60, 0x3eedf032, v92
	v_mul_f32_e32 v134, 0xbf29c268, v112
	v_mul_f32_e32 v136, 0xbf3f9e67, v120
	v_add_f32_e32 v63, v60, v61
	v_fma_f32 v60, v90, s16, -v134
	v_mov_b32_e32 v61, v136
	v_add_f32_e32 v60, v60, v138
	v_fmac_f32_e32 v61, 0xbf29c268, v92
	v_mul_f32_e32 v138, 0x3f52af12, v112
	v_add_f32_e32 v61, v61, v139
	v_mul_f32_e32 v139, 0x3f116cb1, v120
	v_fma_f32 v140, v90, s12, -v138
	v_add_f32_e32 v67, v140, v67
	v_mov_b32_e32 v140, v139
	v_fmac_f32_e32 v140, 0x3f52af12, v92
	v_add_f32_e32 v68, v140, v68
	s_barrier
	s_and_saveexec_b64 s[2:3], vcc
	s_cbranch_execz .LBB0_17
; %bb.16:
	v_mul_f32_e32 v149, 0xbf6f5d39, v81
	v_mul_f32_e32 v155, 0x3f29c268, v83
	;; [unrolled: 1-line block ×3, first 2 shown]
	v_sub_f32_e32 v115, v115, v149
	v_mul_f32_e32 v161, 0x3eedf032, v85
	v_mov_b32_e32 v140, v180
	v_mul_f32_e32 v181, 0x3f62ad3f, v96
	v_add_f32_e32 v115, v66, v115
	v_sub_f32_e32 v122, v122, v155
	v_mul_f32_e32 v167, 0xbf7e222b, v87
	v_fmac_f32_e32 v140, 0x3e750f2a, v81
	v_mov_b32_e32 v141, v181
	v_add_f32_e32 v115, v122, v115
	v_sub_f32_e32 v122, v128, v161
	v_mul_f32_e32 v173, 0x3e750f2a, v89
	v_add_f32_e32 v140, v66, v140
	v_fmac_f32_e32 v141, 0xbeedf032, v83
	v_mul_f32_e32 v182, 0xbf3f9e67, v100
	v_add_f32_e32 v115, v122, v115
	v_sub_f32_e32 v122, v133, v167
	v_mul_f32_e32 v148, 0xbeb58ec6, v80
	v_mul_f32_e32 v179, 0x3f52af12, v92
	v_add_f32_e32 v140, v141, v140
	v_mov_b32_e32 v141, v182
	v_add_f32_e32 v115, v122, v115
	v_sub_f32_e32 v122, v137, v173
	v_add_f32_e32 v41, v41, v66
	v_mul_f32_e32 v154, 0xbf3f9e67, v82
	v_fmac_f32_e32 v141, 0x3f29c268, v85
	v_mul_f32_e32 v183, 0x3f116cb1, v107
	v_add_f32_e32 v115, v122, v115
	v_sub_f32_e32 v122, v139, v179
	v_add_f32_e32 v110, v148, v110
	v_add_f32_e32 v41, v43, v41
	v_mul_f32_e32 v160, 0x3f62ad3f, v84
	v_add_f32_e32 v140, v141, v140
	v_mov_b32_e32 v141, v183
	v_add_f32_e32 v139, v122, v115
	v_add_f32_e32 v110, v65, v110
	;; [unrolled: 1-line block ×4, first 2 shown]
	v_mul_f32_e32 v166, 0x3df6dbef, v86
	v_fmac_f32_e32 v141, 0xbf52af12, v87
	v_mul_f32_e32 v184, 0xbeb58ec6, v114
	v_add_f32_e32 v110, v115, v110
	v_add_f32_e32 v115, v160, v125
	;; [unrolled: 1-line block ×3, first 2 shown]
	v_mul_f32_e32 v172, 0xbf788fa5, v88
	v_add_f32_e32 v140, v141, v140
	v_mov_b32_e32 v141, v184
	v_add_f32_e32 v110, v115, v110
	v_add_f32_e32 v115, v166, v131
	;; [unrolled: 1-line block ×3, first 2 shown]
	v_mul_f32_e32 v147, 0xbf7e222b, v81
	v_mul_f32_e32 v178, 0x3f116cb1, v90
	v_fmac_f32_e32 v141, 0x3f6f5d39, v89
	v_mul_f32_e32 v185, 0x3df6dbef, v120
	v_add_f32_e32 v110, v115, v110
	v_add_f32_e32 v115, v172, v135
	;; [unrolled: 1-line block ×3, first 2 shown]
	v_mul_f32_e32 v153, 0xbe750f2a, v83
	v_add_f32_e32 v140, v141, v140
	v_mov_b32_e32 v141, v185
	v_add_f32_e32 v110, v115, v110
	v_add_f32_e32 v115, v178, v138
	v_sub_f32_e32 v104, v104, v147
	v_add_f32_e32 v41, v53, v41
	v_mul_f32_e32 v159, 0x3f6f5d39, v85
	v_fmac_f32_e32 v141, 0xbf7e222b, v92
	v_mul_f32_e32 v186, 0xbe750f2a, v91
	v_add_f32_e32 v138, v115, v110
	v_add_f32_e32 v104, v66, v104
	v_sub_f32_e32 v110, v111, v153
	v_add_f32_e32 v41, v55, v41
	v_mul_f32_e32 v165, 0x3eedf032, v87
	v_add_f32_e32 v141, v141, v140
	v_mov_b32_e32 v140, v186
	v_mul_f32_e32 v187, 0x3eedf032, v94
	v_add_f32_e32 v104, v110, v104
	v_sub_f32_e32 v110, v119, v159
	v_add_f32_e32 v41, v49, v41
	v_mul_f32_e32 v171, 0xbf52af12, v89
	v_fmac_f32_e32 v140, 0xbf788fa5, v80
	v_mov_b32_e32 v142, v187
	v_add_f32_e32 v104, v110, v104
	v_sub_f32_e32 v110, v126, v165
	v_add_f32_e32 v41, v51, v41
	v_mul_f32_e32 v146, 0x3df6dbef, v80
	v_mul_f32_e32 v177, 0xbf29c268, v92
	v_add_f32_e32 v140, v65, v140
	v_fmac_f32_e32 v142, 0x3f62ad3f, v82
	v_mul_f32_e32 v188, 0xbf29c268, v97
	v_add_f32_e32 v104, v110, v104
	v_sub_f32_e32 v110, v132, v171
	v_add_f32_e32 v1, v1, v41
	v_mul_f32_e32 v152, 0xbf788fa5, v82
	v_add_f32_e32 v140, v142, v140
	v_mov_b32_e32 v142, v188
	v_add_f32_e32 v104, v110, v104
	v_sub_f32_e32 v110, v136, v177
	v_add_f32_e32 v102, v146, v102
	v_add_f32_e32 v1, v3, v1
	v_add_f32_e32 v3, v40, v65
	v_mul_f32_e32 v158, 0xbeb58ec6, v84
	v_fmac_f32_e32 v142, 0xbf3f9e67, v84
	v_mul_f32_e32 v189, 0x3f52af12, v101
	v_add_f32_e32 v111, v110, v104
	v_add_f32_e32 v102, v65, v102
	;; [unrolled: 1-line block ×4, first 2 shown]
	v_mul_f32_e32 v164, 0x3f62ad3f, v86
	v_add_f32_e32 v140, v142, v140
	v_mov_b32_e32 v142, v189
	v_add_f32_e32 v102, v104, v102
	v_add_f32_e32 v104, v158, v116
	;; [unrolled: 1-line block ×3, first 2 shown]
	v_mul_f32_e32 v170, 0x3f116cb1, v88
	v_fmac_f32_e32 v142, 0x3f116cb1, v86
	v_mul_f32_e32 v190, 0xbf6f5d39, v106
	v_add_f32_e32 v102, v104, v102
	v_add_f32_e32 v104, v164, v123
	;; [unrolled: 1-line block ×3, first 2 shown]
	v_mul_f32_e32 v145, 0xbf52af12, v81
	v_mul_f32_e32 v176, 0xbf3f9e67, v90
	v_add_f32_e32 v140, v142, v140
	v_mov_b32_e32 v142, v190
	v_add_f32_e32 v102, v104, v102
	v_add_f32_e32 v104, v170, v129
	;; [unrolled: 1-line block ×3, first 2 shown]
	v_mul_f32_e32 v151, 0xbf6f5d39, v83
	v_fmac_f32_e32 v142, 0xbeb58ec6, v88
	v_mul_f32_e32 v191, 0x3f7e222b, v112
	v_add_f32_e32 v102, v104, v102
	v_add_f32_e32 v104, v176, v134
	v_sub_f32_e32 v98, v98, v145
	v_add_f32_e32 v3, v58, v3
	v_mul_f32_e32 v157, 0xbe750f2a, v85
	v_add_f32_e32 v140, v142, v140
	v_mov_b32_e32 v142, v191
	v_add_f32_e32 v110, v104, v102
	v_add_f32_e32 v98, v66, v98
	v_sub_f32_e32 v102, v103, v151
	v_add_f32_e32 v3, v52, v3
	v_mul_f32_e32 v163, 0x3f29c268, v87
	v_fmac_f32_e32 v142, 0x3df6dbef, v90
	v_mul_f32_e32 v192, 0xbf3f9e67, v93
	v_add_f32_e32 v98, v102, v98
	v_sub_f32_e32 v102, v109, v157
	v_add_f32_e32 v3, v54, v3
	v_mul_f32_e32 v169, 0x3f7e222b, v89
	v_add_f32_e32 v140, v142, v140
	v_mov_b32_e32 v142, v192
	v_mul_f32_e32 v193, 0x3df6dbef, v96
	v_add_f32_e32 v98, v102, v98
	v_sub_f32_e32 v102, v117, v163
	v_add_f32_e32 v3, v48, v3
	v_mul_f32_e32 v144, 0x3f116cb1, v80
	v_mul_f32_e32 v175, 0x3eedf032, v92
	v_fmac_f32_e32 v142, 0x3f29c268, v81
	v_mov_b32_e32 v143, v193
	v_add_f32_e32 v98, v102, v98
	v_sub_f32_e32 v102, v124, v169
	v_add_f32_e32 v3, v50, v3
	v_mul_f32_e32 v150, 0xbeb58ec6, v82
	v_add_f32_e32 v142, v66, v142
	v_fmac_f32_e32 v143, 0xbf7e222b, v83
	v_mul_f32_e32 v194, 0x3f116cb1, v100
	v_add_f32_e32 v98, v102, v98
	v_sub_f32_e32 v102, v130, v175
	v_add_f32_e32 v95, v144, v95
	v_add_f32_e32 v0, v0, v3
	v_fmac_f32_e32 v180, 0xbe750f2a, v81
	v_mul_f32_e32 v156, 0xbf788fa5, v84
	v_add_f32_e32 v142, v143, v142
	v_mov_b32_e32 v143, v194
	v_add_f32_e32 v103, v102, v98
	v_add_f32_e32 v95, v65, v95
	;; [unrolled: 1-line block ×5, first 2 shown]
	v_fmac_f32_e32 v181, 0x3eedf032, v83
	v_mul_f32_e32 v162, 0xbf3f9e67, v86
	v_fmac_f32_e32 v143, 0x3f52af12, v85
	v_mul_f32_e32 v195, 0xbf788fa5, v107
	v_add_f32_e32 v95, v98, v95
	v_add_f32_e32 v98, v156, v105
	;; [unrolled: 1-line block ×3, first 2 shown]
	v_fmac_f32_e32 v182, 0xbf29c268, v85
	v_mul_f32_e32 v168, 0x3df6dbef, v88
	v_add_f32_e32 v142, v143, v142
	v_mov_b32_e32 v143, v195
	v_add_f32_e32 v95, v98, v95
	v_add_f32_e32 v98, v162, v113
	;; [unrolled: 1-line block ×3, first 2 shown]
	v_fmac_f32_e32 v183, 0x3f52af12, v87
	v_mul_f32_e32 v174, 0x3f62ad3f, v90
	v_fmac_f32_e32 v143, 0xbe750f2a, v87
	v_mul_f32_e32 v196, 0x3f62ad3f, v114
	v_add_f32_e32 v95, v98, v95
	v_add_f32_e32 v98, v168, v121
	;; [unrolled: 1-line block ×3, first 2 shown]
	v_fmac_f32_e32 v184, 0xbf6f5d39, v89
	v_add_f32_e32 v142, v143, v142
	v_mov_b32_e32 v143, v196
	v_add_f32_e32 v95, v98, v95
	v_add_f32_e32 v98, v174, v127
	v_mul_f32_e32 v93, 0x3f62ad3f, v93
	v_add_f32_e32 v2, v184, v2
	v_fmac_f32_e32 v185, 0x3f7e222b, v92
	v_fmac_f32_e32 v143, 0xbeedf032, v89
	v_mul_f32_e32 v197, 0xbeb58ec6, v120
	v_add_f32_e32 v102, v98, v95
	v_mov_b32_e32 v95, v93
	v_mul_f32_e32 v96, 0x3f116cb1, v96
	v_add_f32_e32 v3, v185, v2
	v_fma_f32 v2, v80, s15, -v186
	v_add_f32_e32 v142, v143, v142
	v_mov_b32_e32 v143, v197
	v_fmac_f32_e32 v95, 0x3eedf032, v81
	v_mov_b32_e32 v98, v96
	v_add_f32_e32 v2, v65, v2
	v_fma_f32 v40, v82, s17, -v187
	v_fmac_f32_e32 v143, 0x3f6f5d39, v92
	v_mul_f32_e32 v198, 0xbf29c268, v91
	v_add_f32_e32 v95, v66, v95
	v_fmac_f32_e32 v98, 0x3f52af12, v83
	v_add_f32_e32 v2, v40, v2
	v_fma_f32 v40, v84, s16, -v188
	v_add_f32_e32 v143, v143, v142
	v_mov_b32_e32 v142, v198
	v_mul_f32_e32 v199, 0x3f7e222b, v94
	v_add_f32_e32 v95, v98, v95
	v_mul_f32_e32 v98, 0x3df6dbef, v100
	v_add_f32_e32 v2, v40, v2
	v_fma_f32 v40, v86, s12, -v189
	v_fmac_f32_e32 v142, 0xbf3f9e67, v80
	v_mov_b32_e32 v200, v199
	v_mov_b32_e32 v99, v98
	v_add_f32_e32 v2, v40, v2
	v_fma_f32 v40, v88, s14, -v190
	v_add_f32_e32 v142, v65, v142
	v_fmac_f32_e32 v200, 0x3df6dbef, v82
	v_fmac_f32_e32 v99, 0x3f7e222b, v85
	v_add_f32_e32 v2, v40, v2
	v_fma_f32 v40, v90, s13, -v191
	v_fmac_f32_e32 v192, 0xbf29c268, v81
	v_add_f32_e32 v142, v200, v142
	v_mul_f32_e32 v200, 0xbf52af12, v97
	v_add_f32_e32 v95, v99, v95
	v_mul_f32_e32 v99, 0xbeb58ec6, v107
	v_add_f32_e32 v2, v40, v2
	v_add_f32_e32 v40, v66, v192
	v_fmac_f32_e32 v193, 0x3f7e222b, v83
	v_mov_b32_e32 v201, v200
	v_mov_b32_e32 v100, v99
	v_add_f32_e32 v40, v193, v40
	v_fmac_f32_e32 v194, 0xbf52af12, v85
	v_fmac_f32_e32 v201, 0x3f116cb1, v84
	;; [unrolled: 1-line block ×3, first 2 shown]
	v_add_f32_e32 v40, v194, v40
	v_fmac_f32_e32 v195, 0x3e750f2a, v87
	v_add_f32_e32 v142, v201, v142
	v_mul_f32_e32 v201, 0x3e750f2a, v101
	v_add_f32_e32 v95, v100, v95
	v_mul_f32_e32 v100, 0xbf3f9e67, v114
	v_add_f32_e32 v40, v195, v40
	v_fmac_f32_e32 v196, 0x3eedf032, v89
	v_mov_b32_e32 v202, v201
	v_mov_b32_e32 v104, v100
	v_add_f32_e32 v40, v196, v40
	v_fmac_f32_e32 v197, 0xbf6f5d39, v92
	v_fmac_f32_e32 v202, 0xbf788fa5, v86
	;; [unrolled: 1-line block ×3, first 2 shown]
	v_add_f32_e32 v41, v197, v40
	v_fma_f32 v40, v80, s16, -v198
	v_add_f32_e32 v142, v202, v142
	v_mul_f32_e32 v202, 0x3eedf032, v106
	v_add_f32_e32 v95, v104, v95
	v_mul_f32_e32 v104, 0xbf788fa5, v120
	v_add_f32_e32 v40, v65, v40
	v_fma_f32 v42, v82, s13, -v199
	v_mov_b32_e32 v203, v202
	v_mov_b32_e32 v105, v104
	v_add_f32_e32 v40, v42, v40
	v_fma_f32 v42, v84, s12, -v200
	v_fmac_f32_e32 v203, 0x3f62ad3f, v88
	v_fmac_f32_e32 v105, 0x3e750f2a, v92
	v_mul_f32_e32 v91, 0xbeedf032, v91
	v_add_f32_e32 v40, v42, v40
	v_fma_f32 v42, v86, s15, -v201
	v_add_f32_e32 v142, v203, v142
	v_mul_f32_e32 v203, 0xbf6f5d39, v112
	v_add_f32_e32 v95, v105, v95
	v_mov_b32_e32 v105, v91
	v_mul_f32_e32 v107, 0xbf52af12, v94
	v_add_f32_e32 v40, v42, v40
	v_fma_f32 v42, v88, s17, -v202
	v_fmac_f32_e32 v105, 0x3f62ad3f, v80
	v_mov_b32_e32 v94, v107
	v_add_f32_e32 v40, v42, v40
	v_fma_f32 v42, v90, s14, -v203
	v_fmac_f32_e32 v93, 0xbeedf032, v81
	v_add_f32_e32 v105, v65, v105
	v_fmac_f32_e32 v94, 0x3f116cb1, v82
	v_mul_f32_e32 v97, 0xbf7e222b, v97
	v_add_f32_e32 v40, v42, v40
	v_add_f32_e32 v42, v66, v93
	v_fmac_f32_e32 v96, 0xbf52af12, v83
	v_add_f32_e32 v94, v94, v105
	v_mov_b32_e32 v105, v97
	v_add_f32_e32 v42, v96, v42
	v_fmac_f32_e32 v98, 0xbf7e222b, v85
	v_fmac_f32_e32 v105, 0x3df6dbef, v84
	v_mul_f32_e32 v101, 0xbf6f5d39, v101
	v_add_f32_e32 v42, v98, v42
	v_fmac_f32_e32 v99, 0xbf6f5d39, v87
	v_add_f32_e32 v94, v105, v94
	v_mov_b32_e32 v105, v101
	v_add_f32_e32 v42, v99, v42
	v_fmac_f32_e32 v100, 0xbf29c268, v89
	v_fmac_f32_e32 v105, 0xbeb58ec6, v86
	v_add_f32_e32 v42, v100, v42
	v_fmac_f32_e32 v104, 0xbe750f2a, v92
	v_add_f32_e32 v94, v105, v94
	v_mul_f32_e32 v105, 0xbf29c268, v106
	v_add_f32_e32 v43, v104, v42
	v_fma_f32 v42, v80, s17, -v91
	v_mov_b32_e32 v106, v105
	v_add_f32_e32 v42, v65, v42
	v_fma_f32 v44, v82, s12, -v107
	v_fmac_f32_e32 v106, 0xbf3f9e67, v88
	v_add_f32_e32 v42, v44, v42
	v_fma_f32 v44, v84, s13, -v97
	v_add_f32_e32 v94, v106, v94
	v_mul_f32_e32 v106, 0xbe750f2a, v112
	v_add_f32_e32 v42, v44, v42
	v_fma_f32 v44, v86, s14, -v101
	v_mov_b32_e32 v108, v106
	v_add_f32_e32 v42, v44, v42
	v_fma_f32 v44, v88, s16, -v105
	v_mov_b32_e32 v204, v203
	v_fmac_f32_e32 v108, 0xbf788fa5, v90
	v_add_f32_e32 v42, v44, v42
	v_fma_f32 v44, v90, s15, -v106
	v_fmac_f32_e32 v204, 0xbeb58ec6, v90
	v_add_f32_e32 v94, v108, v94
	v_add_f32_e32 v42, v44, v42
	v_lshl_add_u32 v44, v72, 3, v71
	v_add_f32_e32 v142, v204, v142
	ds_write2_b64 v44, v[0:1], v[94:95] offset1:1
	ds_write2_b64 v44, v[102:103], v[110:111] offset0:2 offset1:3
	ds_write2_b64 v44, v[138:139], v[142:143] offset0:4 offset1:5
	;; [unrolled: 1-line block ×5, first 2 shown]
	ds_write_b64 v44, v[42:43] offset:96
.LBB0_17:
	s_or_b64 exec, exec, s[2:3]
	v_add_u32_e32 v54, 0x800, v74
	s_waitcnt lgkmcnt(0)
	s_barrier
	ds_read2_b64 v[40:43], v74 offset1:39
	ds_read2_b64 v[0:3], v74 offset0:78 offset1:143
	ds_read2_b64 v[48:51], v54 offset0:30 offset1:69
	;; [unrolled: 1-line block ×3, first 2 shown]
	ds_read_b64 v[52:53], v74 offset:2912
	s_and_saveexec_b64 s[2:3], s[0:1]
	s_cbranch_execz .LBB0_19
; %bb.18:
	ds_read_b64 v[67:68], v74 offset:936
	ds_read2_b64 v[60:63], v54 offset0:4 offset1:147
.LBB0_19:
	s_or_b64 exec, exec, s[2:3]
	s_waitcnt lgkmcnt(3)
	v_mul_f32_e32 v54, v13, v3
	v_fmac_f32_e32 v54, v12, v2
	v_mul_f32_e32 v2, v13, v2
	v_fma_f32 v12, v12, v3, -v2
	s_waitcnt lgkmcnt(2)
	v_mul_f32_e32 v13, v15, v49
	v_mul_f32_e32 v2, v15, v48
	v_fmac_f32_e32 v13, v14, v48
	v_fma_f32 v14, v14, v49, -v2
	s_waitcnt lgkmcnt(1)
	v_mul_f32_e32 v15, v9, v45
	v_mul_f32_e32 v2, v9, v44
	v_fmac_f32_e32 v15, v8, v44
	v_fma_f32 v44, v8, v45, -v2
	v_mul_f32_e32 v2, v11, v50
	v_fma_f32 v48, v10, v51, -v2
	v_mul_f32_e32 v49, v17, v47
	v_mul_f32_e32 v2, v17, v46
	v_add_f32_e32 v3, v54, v13
	v_mul_f32_e32 v45, v11, v51
	v_fmac_f32_e32 v49, v16, v46
	v_fma_f32 v46, v16, v47, -v2
	s_waitcnt lgkmcnt(0)
	v_mul_f32_e32 v2, v19, v52
	v_fma_f32 v8, -0.5, v3, v40
	v_add_f32_e32 v9, v12, v14
	v_fmac_f32_e32 v45, v10, v50
	v_mul_f32_e32 v47, v19, v53
	v_fma_f32 v19, v18, v53, -v2
	v_add_f32_e32 v2, v40, v54
	v_sub_f32_e32 v3, v12, v14
	v_mov_b32_e32 v10, v8
	v_fma_f32 v9, -0.5, v9, v41
	v_add_f32_e32 v2, v2, v13
	v_fmac_f32_e32 v10, 0xbf5db3d7, v3
	v_fmac_f32_e32 v8, 0x3f5db3d7, v3
	v_add_f32_e32 v3, v41, v12
	v_sub_f32_e32 v12, v54, v13
	v_mov_b32_e32 v11, v9
	v_add_f32_e32 v13, v15, v45
	v_fmac_f32_e32 v11, 0x3f5db3d7, v12
	v_fmac_f32_e32 v9, 0xbf5db3d7, v12
	v_add_f32_e32 v12, v42, v15
	v_fma_f32 v42, -0.5, v13, v42
	v_add_f32_e32 v3, v3, v14
	v_sub_f32_e32 v13, v44, v48
	v_mov_b32_e32 v14, v42
	v_add_f32_e32 v16, v44, v48
	v_fmac_f32_e32 v47, v18, v52
	v_fmac_f32_e32 v14, 0xbf5db3d7, v13
	v_fmac_f32_e32 v42, 0x3f5db3d7, v13
	v_add_f32_e32 v13, v43, v44
	v_fmac_f32_e32 v43, -0.5, v16
	v_sub_f32_e32 v16, v15, v45
	v_mov_b32_e32 v15, v43
	v_add_f32_e32 v17, v49, v47
	v_fmac_f32_e32 v15, 0x3f5db3d7, v16
	v_fmac_f32_e32 v43, 0xbf5db3d7, v16
	v_add_f32_e32 v16, v0, v49
	v_fma_f32 v0, -0.5, v17, v0
	v_sub_f32_e32 v17, v46, v19
	v_mov_b32_e32 v18, v0
	v_fmac_f32_e32 v18, 0xbf5db3d7, v17
	v_fmac_f32_e32 v0, 0x3f5db3d7, v17
	v_add_f32_e32 v17, v1, v46
	v_add_f32_e32 v17, v17, v19
	v_add_f32_e32 v19, v46, v19
	v_fmac_f32_e32 v1, -0.5, v19
	v_sub_f32_e32 v40, v49, v47
	v_mov_b32_e32 v19, v1
	v_add_f32_e32 v12, v12, v45
	v_add_f32_e32 v13, v13, v48
	;; [unrolled: 1-line block ×3, first 2 shown]
	v_fmac_f32_e32 v19, 0x3f5db3d7, v40
	v_fmac_f32_e32 v1, 0xbf5db3d7, v40
	s_barrier
	ds_write2_b64 v77, v[2:3], v[10:11] offset1:13
	ds_write_b64 v77, v[8:9] offset:208
	ds_write2_b64 v78, v[12:13], v[14:15] offset1:13
	ds_write_b64 v78, v[42:43] offset:208
	;; [unrolled: 2-line block ×3, first 2 shown]
	s_and_saveexec_b64 s[2:3], s[0:1]
	s_cbranch_execz .LBB0_21
; %bb.20:
	v_mul_f32_e32 v0, v5, v60
	v_fma_f32 v2, v4, v61, -v0
	v_mul_f32_e32 v0, v7, v62
	v_fma_f32 v8, v6, v63, -v0
	v_mul_f32_e32 v9, v5, v61
	v_add_f32_e32 v0, v2, v8
	v_fmac_f32_e32 v9, v4, v60
	v_mul_f32_e32 v4, v7, v63
	v_fma_f32 v1, -0.5, v0, v68
	v_fmac_f32_e32 v4, v6, v62
	v_sub_f32_e32 v0, v9, v4
	v_mov_b32_e32 v3, v1
	v_fmac_f32_e32 v3, 0xbf5db3d7, v0
	v_fmac_f32_e32 v1, 0x3f5db3d7, v0
	v_add_f32_e32 v0, v68, v2
	v_add_f32_e32 v5, v0, v8
	;; [unrolled: 1-line block ×3, first 2 shown]
	v_fma_f32 v0, -0.5, v0, v67
	v_sub_f32_e32 v6, v2, v8
	v_mov_b32_e32 v2, v0
	v_fmac_f32_e32 v2, 0x3f5db3d7, v6
	v_fmac_f32_e32 v0, 0xbf5db3d7, v6
	v_add_f32_e32 v6, v67, v9
	v_add_f32_e32 v4, v6, v4
	v_add_u32_sdwa v6, v76, v75 dst_sel:DWORD dst_unused:UNUSED_PAD src0_sel:DWORD src1_sel:BYTE_0
	v_lshl_add_u32 v6, v6, 3, v71
	ds_write2_b64 v6, v[4:5], v[0:1] offset1:13
	ds_write_b64 v6, v[2:3] offset:208
.LBB0_21:
	s_or_b64 exec, exec, s[2:3]
	s_waitcnt lgkmcnt(0)
	s_barrier
	ds_read2_b64 v[0:3], v74 offset1:39
	ds_read_b64 v[40:41], v74 offset:624
	ds_read2_b64 v[4:7], v74 offset0:117 offset1:156
	ds_read2_b64 v[8:11], v74 offset0:195 offset1:234
	v_add_u32_e32 v16, 0x800, v74
	s_waitcnt lgkmcnt(3)
	v_mul_f32_e32 v42, v33, v3
	v_fmac_f32_e32 v42, v32, v2
	v_mul_f32_e32 v2, v33, v2
	v_fma_f32 v32, v32, v3, -v2
	s_waitcnt lgkmcnt(2)
	v_mul_f32_e32 v33, v35, v41
	v_mul_f32_e32 v2, v35, v40
	ds_read2_b64 v[12:15], v16 offset0:17 offset1:56
	ds_read2_b64 v[16:19], v16 offset0:95 offset1:134
	v_fmac_f32_e32 v33, v34, v40
	v_fma_f32 v34, v34, v41, -v2
	s_waitcnt lgkmcnt(3)
	v_mul_f32_e32 v35, v29, v5
	v_mul_f32_e32 v2, v29, v4
	v_fmac_f32_e32 v35, v28, v4
	v_fma_f32 v4, v28, v5, -v2
	v_mul_f32_e32 v5, v31, v7
	v_mul_f32_e32 v2, v31, v6
	v_fmac_f32_e32 v5, v30, v6
	v_fma_f32 v6, v30, v7, -v2
	s_waitcnt lgkmcnt(2)
	v_mul_f32_e32 v7, v25, v9
	v_mul_f32_e32 v2, v25, v8
	v_fmac_f32_e32 v7, v24, v8
	v_fma_f32 v8, v24, v9, -v2
	v_mul_f32_e32 v9, v27, v11
	v_mul_f32_e32 v2, v27, v10
	v_fmac_f32_e32 v9, v26, v10
	v_fma_f32 v10, v26, v11, -v2
	s_waitcnt lgkmcnt(1)
	v_mul_f32_e32 v11, v21, v13
	v_mul_f32_e32 v2, v21, v12
	v_add_f32_e32 v3, v1, v32
	v_fmac_f32_e32 v11, v20, v12
	v_fma_f32 v12, v20, v13, -v2
	v_mul_f32_e32 v13, v23, v15
	v_mul_f32_e32 v2, v23, v14
	v_add_f32_e32 v3, v3, v34
	v_fmac_f32_e32 v13, v22, v14
	v_fma_f32 v14, v22, v15, -v2
	s_waitcnt lgkmcnt(0)
	v_mul_f32_e32 v15, v37, v17
	v_mul_f32_e32 v2, v37, v16
	v_add_f32_e32 v3, v3, v4
	v_fmac_f32_e32 v15, v36, v16
	v_fma_f32 v16, v36, v17, -v2
	v_mul_f32_e32 v17, v39, v19
	v_mul_f32_e32 v2, v39, v18
	v_add_f32_e32 v3, v3, v6
	v_fmac_f32_e32 v17, v38, v18
	v_fma_f32 v18, v38, v19, -v2
	v_add_f32_e32 v2, v0, v42
	v_add_f32_e32 v3, v3, v8
	;; [unrolled: 1-line block ×13, first 2 shown]
	v_sub_f32_e32 v18, v32, v18
	v_add_f32_e32 v2, v2, v11
	v_mul_f32_e32 v21, 0xbf0a6770, v18
	v_mul_f32_e32 v25, 0xbf68dda4, v18
	;; [unrolled: 1-line block ×5, first 2 shown]
	v_add_f32_e32 v2, v2, v13
	v_add_f32_e32 v19, v42, v17
	s_mov_b32 s2, 0x3f575c64
	v_mov_b32_e32 v22, v21
	s_mov_b32 s0, 0x3ed4b147
	v_mov_b32_e32 v26, v25
	s_mov_b32 s1, 0xbe11bafb
	v_mov_b32_e32 v30, v29
	s_mov_b32 s3, 0xbf27a4f4
	v_mov_b32_e32 v37, v36
	s_mov_b32 s12, 0xbf75a155
	v_mov_b32_e32 v40, v18
	v_add_f32_e32 v2, v2, v15
	v_fmac_f32_e32 v22, 0x3f575c64, v19
	v_mul_f32_e32 v23, 0x3f575c64, v20
	v_fma_f32 v21, v19, s2, -v21
	v_fmac_f32_e32 v26, 0x3ed4b147, v19
	v_mul_f32_e32 v27, 0x3ed4b147, v20
	v_fma_f32 v25, v19, s0, -v25
	v_fmac_f32_e32 v30, 0xbe11bafb, v19
	v_mul_f32_e32 v31, 0xbe11bafb, v20
	v_fma_f32 v29, v19, s1, -v29
	v_fmac_f32_e32 v37, 0xbf27a4f4, v19
	v_mul_f32_e32 v38, 0xbf27a4f4, v20
	v_fma_f32 v36, v19, s3, -v36
	v_fmac_f32_e32 v40, 0xbf75a155, v19
	v_mul_f32_e32 v20, 0xbf75a155, v20
	v_fma_f32 v18, v19, s12, -v18
	v_add_f32_e32 v2, v2, v17
	v_sub_f32_e32 v17, v42, v17
	v_add_f32_e32 v22, v0, v22
	v_mov_b32_e32 v24, v23
	v_add_f32_e32 v21, v0, v21
	v_add_f32_e32 v26, v0, v26
	v_mov_b32_e32 v28, v27
	v_add_f32_e32 v25, v0, v25
	;; [unrolled: 3-line block ×5, first 2 shown]
	v_add_f32_e32 v18, v34, v16
	v_sub_f32_e32 v16, v34, v16
	v_fmac_f32_e32 v24, 0x3f0a6770, v17
	v_fmac_f32_e32 v23, 0xbf0a6770, v17
	;; [unrolled: 1-line block ×10, first 2 shown]
	v_mul_f32_e32 v19, 0xbf68dda4, v16
	v_add_f32_e32 v24, v1, v24
	v_add_f32_e32 v23, v1, v23
	;; [unrolled: 1-line block ×11, first 2 shown]
	v_mov_b32_e32 v20, v19
	v_fmac_f32_e32 v20, 0x3ed4b147, v17
	v_sub_f32_e32 v15, v33, v15
	v_add_f32_e32 v20, v20, v22
	v_mul_f32_e32 v22, 0x3ed4b147, v18
	v_mov_b32_e32 v33, v22
	v_fma_f32 v19, v17, s0, -v19
	v_fmac_f32_e32 v22, 0xbf68dda4, v15
	v_add_f32_e32 v19, v19, v21
	v_add_f32_e32 v21, v22, v23
	v_mul_f32_e32 v22, 0xbf4178ce, v16
	v_mov_b32_e32 v23, v22
	v_fmac_f32_e32 v23, 0xbf27a4f4, v17
	v_fmac_f32_e32 v33, 0x3f68dda4, v15
	v_add_f32_e32 v23, v23, v26
	v_mul_f32_e32 v26, 0xbf27a4f4, v18
	v_add_f32_e32 v24, v33, v24
	v_mov_b32_e32 v33, v26
	v_fma_f32 v22, v17, s3, -v22
	v_fmac_f32_e32 v26, 0xbf4178ce, v15
	v_add_f32_e32 v22, v22, v25
	v_add_f32_e32 v25, v26, v27
	v_mul_f32_e32 v26, 0x3e903f40, v16
	v_mov_b32_e32 v27, v26
	v_fmac_f32_e32 v27, 0xbf75a155, v17
	v_fmac_f32_e32 v33, 0x3f4178ce, v15
	v_add_f32_e32 v27, v27, v30
	v_mul_f32_e32 v30, 0xbf75a155, v18
	v_add_f32_e32 v28, v33, v28
	v_mov_b32_e32 v33, v30
	v_fma_f32 v26, v17, s12, -v26
	v_fmac_f32_e32 v30, 0x3e903f40, v15
	v_add_f32_e32 v26, v26, v29
	v_add_f32_e32 v29, v30, v31
	v_mul_f32_e32 v30, 0x3f7d64f0, v16
	v_mov_b32_e32 v31, v30
	v_fma_f32 v30, v17, s1, -v30
	v_mul_f32_e32 v16, 0x3f0a6770, v16
	v_fmac_f32_e32 v33, 0xbe903f40, v15
	v_add_f32_e32 v30, v30, v36
	v_mov_b32_e32 v36, v16
	v_fma_f32 v16, v17, s2, -v16
	v_add_f32_e32 v32, v33, v32
	v_fmac_f32_e32 v31, 0xbe11bafb, v17
	v_mul_f32_e32 v33, 0xbe11bafb, v18
	v_mul_f32_e32 v18, 0x3f575c64, v18
	v_add_f32_e32 v0, v16, v0
	v_add_f32_e32 v16, v4, v14
	v_sub_f32_e32 v4, v4, v14
	v_add_f32_e32 v31, v31, v37
	v_mov_b32_e32 v34, v33
	v_mov_b32_e32 v37, v18
	v_mul_f32_e32 v14, 0xbf7d64f0, v4
	v_fmac_f32_e32 v34, 0xbf7d64f0, v15
	v_fmac_f32_e32 v33, 0x3f7d64f0, v15
	;; [unrolled: 1-line block ×5, first 2 shown]
	v_add_f32_e32 v15, v35, v13
	v_mov_b32_e32 v17, v14
	v_add_f32_e32 v1, v18, v1
	v_sub_f32_e32 v13, v35, v13
	v_fmac_f32_e32 v17, 0xbe11bafb, v15
	v_mul_f32_e32 v18, 0xbe11bafb, v16
	v_fma_f32 v14, v15, s1, -v14
	v_add_f32_e32 v17, v17, v20
	v_mov_b32_e32 v20, v18
	v_add_f32_e32 v14, v14, v19
	v_fmac_f32_e32 v18, 0xbf7d64f0, v13
	v_mul_f32_e32 v19, 0x3e903f40, v4
	v_add_f32_e32 v18, v18, v21
	v_mov_b32_e32 v21, v19
	v_fmac_f32_e32 v21, 0xbf75a155, v15
	v_fmac_f32_e32 v20, 0x3f7d64f0, v13
	v_add_f32_e32 v21, v21, v23
	v_mul_f32_e32 v23, 0xbf75a155, v16
	v_add_f32_e32 v20, v20, v24
	v_mov_b32_e32 v24, v23
	v_fma_f32 v19, v15, s12, -v19
	v_fmac_f32_e32 v23, 0x3e903f40, v13
	v_add_f32_e32 v19, v19, v22
	v_add_f32_e32 v22, v23, v25
	v_mul_f32_e32 v23, 0x3f68dda4, v4
	v_mov_b32_e32 v25, v23
	v_fmac_f32_e32 v25, 0x3ed4b147, v15
	v_fmac_f32_e32 v24, 0xbe903f40, v13
	v_add_f32_e32 v25, v25, v27
	v_mul_f32_e32 v27, 0x3ed4b147, v16
	v_add_f32_e32 v24, v24, v28
	v_mov_b32_e32 v28, v27
	v_fma_f32 v23, v15, s0, -v23
	v_fmac_f32_e32 v27, 0x3f68dda4, v13
	v_add_f32_e32 v23, v23, v26
	v_add_f32_e32 v26, v27, v29
	v_mul_f32_e32 v27, 0xbf0a6770, v4
	v_mov_b32_e32 v29, v27
	v_fmac_f32_e32 v29, 0x3f575c64, v15
	v_fmac_f32_e32 v28, 0xbf68dda4, v13
	v_add_f32_e32 v29, v29, v31
	v_mul_f32_e32 v31, 0x3f575c64, v16
	v_add_f32_e32 v33, v33, v38
	v_add_f32_e32 v28, v28, v32
	v_mov_b32_e32 v32, v31
	v_fma_f32 v27, v15, s2, -v27
	v_fmac_f32_e32 v31, 0xbf0a6770, v13
	v_mul_f32_e32 v16, 0xbf27a4f4, v16
	v_add_f32_e32 v27, v27, v30
	v_add_f32_e32 v30, v31, v33
	v_mul_f32_e32 v4, 0xbf4178ce, v4
	v_mov_b32_e32 v33, v16
	v_fmac_f32_e32 v32, 0x3f0a6770, v13
	v_mov_b32_e32 v31, v4
	v_fmac_f32_e32 v33, 0x3f4178ce, v13
	v_fma_f32 v4, v15, s3, -v4
	v_fmac_f32_e32 v16, 0xbf4178ce, v13
	v_add_f32_e32 v13, v6, v12
	v_sub_f32_e32 v6, v6, v12
	v_fmac_f32_e32 v31, 0xbf27a4f4, v15
	v_add_f32_e32 v0, v4, v0
	v_add_f32_e32 v4, v5, v11
	v_sub_f32_e32 v5, v5, v11
	v_mul_f32_e32 v11, 0xbf4178ce, v6
	v_mul_f32_e32 v15, 0xbf27a4f4, v13
	v_add_f32_e32 v1, v16, v1
	v_mov_b32_e32 v12, v11
	v_mov_b32_e32 v16, v15
	v_fma_f32 v11, v4, s3, -v11
	v_fmac_f32_e32 v15, 0xbf4178ce, v5
	v_fmac_f32_e32 v12, 0xbf27a4f4, v4
	v_add_f32_e32 v11, v11, v14
	v_add_f32_e32 v14, v15, v18
	v_mul_f32_e32 v15, 0x3f7d64f0, v6
	v_add_f32_e32 v12, v12, v17
	v_mov_b32_e32 v17, v15
	v_fma_f32 v15, v4, s1, -v15
	v_fmac_f32_e32 v16, 0x3f4178ce, v5
	v_fmac_f32_e32 v17, 0xbe11bafb, v4
	v_mul_f32_e32 v18, 0xbe11bafb, v13
	v_add_f32_e32 v15, v15, v19
	v_mul_f32_e32 v19, 0xbf0a6770, v6
	v_add_f32_e32 v16, v16, v20
	v_add_f32_e32 v17, v17, v21
	v_mov_b32_e32 v20, v18
	v_fmac_f32_e32 v18, 0x3f7d64f0, v5
	v_mov_b32_e32 v21, v19
	v_fma_f32 v19, v4, s2, -v19
	v_fmac_f32_e32 v20, 0xbf7d64f0, v5
	v_add_f32_e32 v18, v18, v22
	v_fmac_f32_e32 v21, 0x3f575c64, v4
	v_mul_f32_e32 v22, 0x3f575c64, v13
	v_add_f32_e32 v19, v19, v23
	v_mul_f32_e32 v23, 0xbe903f40, v6
	v_add_f32_e32 v20, v20, v24
	v_add_f32_e32 v21, v21, v25
	v_mov_b32_e32 v24, v22
	v_fmac_f32_e32 v22, 0xbf0a6770, v5
	v_mov_b32_e32 v25, v23
	v_fma_f32 v23, v4, s12, -v23
	v_mul_f32_e32 v6, 0x3f68dda4, v6
	v_fmac_f32_e32 v24, 0x3f0a6770, v5
	v_add_f32_e32 v22, v22, v26
	v_mul_f32_e32 v26, 0xbf75a155, v13
	v_add_f32_e32 v23, v23, v27
	v_mov_b32_e32 v27, v6
	v_add_f32_e32 v34, v34, v39
	v_add_f32_e32 v24, v24, v28
	v_fmac_f32_e32 v25, 0xbf75a155, v4
	v_mov_b32_e32 v28, v26
	v_fmac_f32_e32 v26, 0xbe903f40, v5
	v_fmac_f32_e32 v27, 0x3ed4b147, v4
	v_mul_f32_e32 v13, 0x3ed4b147, v13
	v_fma_f32 v4, v4, s0, -v6
	v_sub_f32_e32 v35, v8, v10
	v_add_f32_e32 v37, v37, v41
	v_add_f32_e32 v32, v32, v34
	;; [unrolled: 1-line block ×3, first 2 shown]
	v_fmac_f32_e32 v28, 0x3e903f40, v5
	v_add_f32_e32 v26, v26, v30
	v_mov_b32_e32 v29, v13
	v_add_f32_e32 v30, v4, v0
	v_mul_f32_e32 v4, 0xbe903f40, v35
	v_add_f32_e32 v33, v33, v37
	v_add_f32_e32 v28, v28, v32
	v_fmac_f32_e32 v29, 0xbf68dda4, v5
	v_add_f32_e32 v32, v7, v9
	v_mov_b32_e32 v0, v4
	v_add_f32_e32 v36, v36, v40
	v_add_f32_e32 v29, v29, v33
	;; [unrolled: 1-line block ×3, first 2 shown]
	v_fmac_f32_e32 v0, 0xbf75a155, v32
	v_add_f32_e32 v31, v31, v36
	v_fmac_f32_e32 v13, 0x3f68dda4, v5
	v_sub_f32_e32 v34, v7, v9
	v_add_f32_e32 v0, v0, v12
	v_mul_f32_e32 v5, 0xbf75a155, v33
	v_mul_f32_e32 v8, 0x3f0a6770, v35
	;; [unrolled: 1-line block ×4, first 2 shown]
	v_add_f32_e32 v27, v27, v31
	v_add_f32_e32 v31, v13, v1
	v_mov_b32_e32 v1, v5
	v_mov_b32_e32 v6, v8
	;; [unrolled: 1-line block ×4, first 2 shown]
	v_fmac_f32_e32 v1, 0x3e903f40, v34
	v_fmac_f32_e32 v6, 0x3f575c64, v32
	;; [unrolled: 1-line block ×4, first 2 shown]
	v_add_f32_e32 v1, v1, v16
	v_fma_f32 v4, v32, s12, -v4
	v_fmac_f32_e32 v5, 0xbe903f40, v34
	v_add_f32_e32 v6, v6, v17
	v_add_f32_e32 v7, v7, v20
	v_fma_f32 v8, v32, s2, -v8
	v_fmac_f32_e32 v9, 0x3f0a6770, v34
	v_add_f32_e32 v10, v10, v21
	v_mul_f32_e32 v13, 0xbf27a4f4, v33
	v_fma_f32 v12, v32, s3, -v12
	v_mul_f32_e32 v16, 0x3f68dda4, v35
	v_mul_f32_e32 v17, 0x3ed4b147, v33
	;; [unrolled: 1-line block ×4, first 2 shown]
	v_add_f32_e32 v4, v4, v11
	v_add_f32_e32 v5, v5, v14
	;; [unrolled: 1-line block ×4, first 2 shown]
	v_mov_b32_e32 v11, v13
	v_add_f32_e32 v12, v12, v19
	v_mov_b32_e32 v14, v16
	v_mov_b32_e32 v15, v17
	;; [unrolled: 1-line block ×4, first 2 shown]
	v_fmac_f32_e32 v11, 0x3f4178ce, v34
	v_fmac_f32_e32 v13, 0xbf4178ce, v34
	;; [unrolled: 1-line block ×4, first 2 shown]
	v_fma_f32 v16, v32, s0, -v16
	v_fmac_f32_e32 v17, 0x3f68dda4, v34
	v_fmac_f32_e32 v18, 0xbe11bafb, v32
	;; [unrolled: 1-line block ×3, first 2 shown]
	v_fma_f32 v20, v32, s1, -v20
	v_fmac_f32_e32 v21, 0xbf7d64f0, v34
	v_add_f32_e32 v11, v11, v24
	v_add_f32_e32 v13, v13, v22
	;; [unrolled: 1-line block ×10, first 2 shown]
	ds_write_b64 v73, v[2:3]
	ds_write2_b64 v73, v[0:1], v[6:7] offset0:39 offset1:78
	ds_write2_b64 v73, v[10:11], v[14:15] offset0:117 offset1:156
	;; [unrolled: 1-line block ×3, first 2 shown]
	v_add_u32_e32 v0, 0x800, v73
	ds_write2_b64 v0, v[16:17], v[12:13] offset0:17 offset1:56
	ds_write2_b64 v0, v[8:9], v[4:5] offset0:95 offset1:134
	s_waitcnt lgkmcnt(0)
	s_barrier
	s_and_b64 exec, exec, vcc
	s_cbranch_execz .LBB0_23
; %bb.22:
	global_load_dwordx2 v[9:10], v69, s[8:9]
	global_load_dwordx2 v[11:12], v69, s[8:9] offset:264
	global_load_dwordx2 v[13:14], v69, s[8:9] offset:528
	;; [unrolled: 1-line block ×4, first 2 shown]
	ds_read_b64 v[21:22], v73
	ds_read2_b64 v[1:4], v73 offset0:33 offset1:66
	ds_read2_b64 v[5:8], v73 offset0:99 offset1:132
	global_load_dwordx2 v[25:26], v69, s[8:9] offset:1320
	global_load_dwordx2 v[27:28], v69, s[8:9] offset:1584
	;; [unrolled: 1-line block ×3, first 2 shown]
	v_mad_u64_u32 v[19:20], s[0:1], s6, v64, 0
	v_mad_u64_u32 v[23:24], s[2:3], s4, v70, 0
	s_mul_i32 s3, s5, 0x108
	s_mul_hi_u32 s6, s4, 0x108
	s_add_i32 s3, s6, s3
	s_waitcnt lgkmcnt(2)
	v_mad_u64_u32 v[31:32], s[6:7], s7, v64, v[20:21]
	s_mul_i32 s2, s4, 0x108
	v_mov_b32_e32 v34, s11
	v_mov_b32_e32 v20, v31
	v_lshlrev_b64 v[19:20], 3, v[19:20]
	v_mov_b32_e32 v35, s3
	v_add_co_u32_e32 v19, vcc, s10, v19
	v_addc_co_u32_e32 v20, vcc, v34, v20, vcc
	s_mov_b32 s0, 0x58e9ebb6
	s_mov_b32 s1, 0x3f631877
	v_mov_b32_e32 v37, s3
	s_waitcnt vmcnt(6) lgkmcnt(1)
	v_mul_f32_e32 v34, v2, v12
	v_mul_f32_e32 v12, v1, v12
	s_waitcnt vmcnt(4) lgkmcnt(0)
	v_mul_f32_e32 v36, v6, v16
	v_mul_f32_e32 v16, v5, v16
	v_fmac_f32_e32 v34, v1, v11
	s_waitcnt vmcnt(2)
	v_mad_u64_u32 v[32:33], s[4:5], s5, v70, v[24:25]
	v_mov_b32_e32 v33, s3
	v_fmac_f32_e32 v36, v5, v15
	v_mov_b32_e32 v24, v32
	v_lshlrev_b64 v[23:24], 3, v[23:24]
	v_mul_f32_e32 v38, v8, v18
	v_add_co_u32_e32 v19, vcc, v19, v23
	v_addc_co_u32_e32 v20, vcc, v20, v24, vcc
	v_add_co_u32_e32 v23, vcc, s2, v19
	v_addc_co_u32_e32 v24, vcc, v20, v35, vcc
	;; [unrolled: 2-line block ×3, first 2 shown]
	v_mul_f32_e32 v33, v22, v10
	v_mul_f32_e32 v10, v21, v10
	;; [unrolled: 1-line block ×4, first 2 shown]
	v_fmac_f32_e32 v33, v21, v9
	v_fma_f32 v9, v9, v22, -v10
	v_fma_f32 v10, v11, v2, -v12
	v_fmac_f32_e32 v35, v3, v13
	v_fma_f32 v13, v13, v4, -v14
	v_cvt_f64_f32_e32 v[1:2], v33
	v_cvt_f64_f32_e32 v[3:4], v9
	v_fma_f32 v21, v15, v6, -v16
	v_cvt_f64_f32_e32 v[5:6], v34
	v_cvt_f64_f32_e32 v[9:10], v10
	;; [unrolled: 1-line block ×4, first 2 shown]
	v_mul_f64 v[1:2], v[1:2], s[0:1]
	v_mul_f64 v[3:4], v[3:4], s[0:1]
	;; [unrolled: 1-line block ×6, first 2 shown]
	v_cvt_f64_f32_e32 v[15:16], v36
	global_load_dwordx2 v[35:36], v69, s[8:9] offset:2112
	v_cvt_f64_f32_e32 v[21:22], v21
	v_cvt_f32_f64_e32 v1, v[1:2]
	v_cvt_f32_f64_e32 v2, v[3:4]
	;; [unrolled: 1-line block ×6, first 2 shown]
	v_mul_f64 v[15:16], v[15:16], s[0:1]
	v_mul_f64 v[21:22], v[21:22], s[0:1]
	global_store_dwordx2 v[19:20], v[1:2], off
	global_store_dwordx2 v[23:24], v[3:4], off
	;; [unrolled: 1-line block ×3, first 2 shown]
	global_load_dwordx2 v[5:6], v69, s[8:9] offset:2376
	v_mul_f32_e32 v1, v7, v18
	v_fma_f32 v1, v17, v8, -v1
	v_fmac_f32_e32 v38, v7, v17
	v_cvt_f64_f32_e32 v[7:8], v1
	ds_read2_b64 v[1:4], v73 offset0:165 offset1:198
	v_cvt_f32_f64_e32 v9, v[15:16]
	v_cvt_f32_f64_e32 v10, v[21:22]
	v_mul_f64 v[7:8], v[7:8], s[0:1]
	v_cvt_f64_f32_e32 v[33:34], v38
	v_add_co_u32_e32 v11, vcc, s2, v31
	v_addc_co_u32_e32 v12, vcc, v32, v37, vcc
	global_store_dwordx2 v[11:12], v[9:10], off
	s_waitcnt lgkmcnt(0)
	v_mul_f32_e32 v10, v2, v26
	v_fmac_f32_e32 v10, v1, v25
	v_mul_f64 v[33:34], v[33:34], s[0:1]
	v_cvt_f64_f32_e32 v[13:14], v10
	v_cvt_f32_f64_e32 v10, v[7:8]
	global_load_dwordx2 v[7:8], v69, s[8:9] offset:2640
	v_mov_b32_e32 v15, s3
	v_mul_f64 v[13:14], v[13:14], s[0:1]
	v_add_co_u32_e32 v11, vcc, s2, v11
	v_cvt_f32_f64_e32 v9, v[33:34]
	v_addc_co_u32_e32 v12, vcc, v12, v15, vcc
	v_mul_f32_e32 v1, v1, v26
	global_store_dwordx2 v[11:12], v[9:10], off
	v_cvt_f32_f64_e32 v9, v[13:14]
	global_load_dwordx2 v[13:14], v69, s[8:9] offset:2904
	v_fma_f32 v1, v25, v2, -v1
	v_cvt_f64_f32_e32 v[1:2], v1
	v_mov_b32_e32 v19, s3
	v_add_co_u32_e32 v11, vcc, s2, v11
	v_mul_f64 v[1:2], v[1:2], s[0:1]
	v_addc_co_u32_e32 v12, vcc, v12, v19, vcc
	v_cvt_f32_f64_e32 v10, v[1:2]
	s_waitcnt vmcnt(10)
	v_mul_f32_e32 v1, v4, v28
	v_fmac_f32_e32 v1, v3, v27
	v_cvt_f64_f32_e32 v[15:16], v1
	v_mul_f32_e32 v1, v3, v28
	v_fma_f32 v1, v27, v4, -v1
	v_cvt_f64_f32_e32 v[17:18], v1
	v_add_u32_e32 v1, 0x400, v73
	ds_read2_b64 v[1:4], v1 offset0:103 offset1:136
	global_store_dwordx2 v[11:12], v[9:10], off
	v_mul_f64 v[9:10], v[15:16], s[0:1]
	v_mul_f64 v[15:16], v[17:18], s[0:1]
	v_add_co_u32_e32 v11, vcc, s2, v11
	s_waitcnt vmcnt(10) lgkmcnt(0)
	v_mul_f32_e32 v17, v2, v30
	v_fmac_f32_e32 v17, v1, v29
	v_mul_f32_e32 v1, v1, v30
	v_fma_f32 v1, v29, v2, -v1
	v_cvt_f64_f32_e32 v[1:2], v1
	v_cvt_f64_f32_e32 v[17:18], v17
	v_cvt_f32_f64_e32 v9, v[9:10]
	v_cvt_f32_f64_e32 v10, v[15:16]
	v_mul_f64 v[1:2], v[1:2], s[0:1]
	v_mul_f64 v[15:16], v[17:18], s[0:1]
	v_mov_b32_e32 v17, s3
	v_addc_co_u32_e32 v12, vcc, v12, v17, vcc
	global_store_dwordx2 v[11:12], v[9:10], off
	v_add_co_u32_e32 v11, vcc, s2, v11
	v_cvt_f32_f64_e32 v10, v[1:2]
	s_waitcnt vmcnt(10)
	v_mul_f32_e32 v1, v4, v36
	v_fmac_f32_e32 v1, v3, v35
	v_cvt_f32_f64_e32 v9, v[15:16]
	v_cvt_f64_f32_e32 v[15:16], v1
	v_mul_f32_e32 v1, v3, v36
	v_fma_f32 v1, v35, v4, -v1
	v_cvt_f64_f32_e32 v[17:18], v1
	ds_read2_b64 v[1:4], v0 offset0:41 offset1:74
	v_addc_co_u32_e32 v12, vcc, v12, v19, vcc
	global_store_dwordx2 v[11:12], v[9:10], off
	v_mul_f64 v[9:10], v[15:16], s[0:1]
	v_mul_f64 v[15:16], v[17:18], s[0:1]
	s_waitcnt vmcnt(7) lgkmcnt(0)
	v_mul_f32_e32 v17, v2, v6
	v_fmac_f32_e32 v17, v1, v5
	v_mul_f32_e32 v1, v1, v6
	v_fma_f32 v1, v5, v2, -v1
	v_cvt_f64_f32_e32 v[1:2], v1
	v_cvt_f64_f32_e32 v[17:18], v17
	v_cvt_f32_f64_e32 v5, v[9:10]
	v_cvt_f32_f64_e32 v6, v[15:16]
	v_mul_f64 v[1:2], v[1:2], s[0:1]
	v_mul_f64 v[9:10], v[17:18], s[0:1]
	v_mov_b32_e32 v15, s3
	v_add_co_u32_e32 v11, vcc, s2, v11
	v_addc_co_u32_e32 v12, vcc, v12, v15, vcc
	global_store_dwordx2 v[11:12], v[5:6], off
	v_cvt_f32_f64_e32 v6, v[1:2]
	s_waitcnt vmcnt(6)
	v_mul_f32_e32 v1, v4, v8
	v_fmac_f32_e32 v1, v3, v7
	v_cvt_f32_f64_e32 v5, v[9:10]
	v_cvt_f64_f32_e32 v[9:10], v1
	v_mul_f32_e32 v1, v3, v8
	v_fma_f32 v1, v7, v4, -v1
	v_cvt_f64_f32_e32 v[7:8], v1
	ds_read2_b64 v[0:3], v0 offset0:107 offset1:140
	v_add_co_u32_e32 v11, vcc, s2, v11
	v_addc_co_u32_e32 v12, vcc, v12, v15, vcc
	global_store_dwordx2 v[11:12], v[5:6], off
	v_mul_f64 v[4:5], v[9:10], s[0:1]
	v_mul_f64 v[6:7], v[7:8], s[0:1]
	s_waitcnt vmcnt(5) lgkmcnt(0)
	v_mul_f32_e32 v8, v1, v14
	v_fmac_f32_e32 v8, v0, v13
	v_mul_f32_e32 v0, v0, v14
	v_fma_f32 v0, v13, v1, -v0
	v_cvt_f64_f32_e32 v[8:9], v8
	v_cvt_f64_f32_e32 v[0:1], v0
	v_cvt_f32_f64_e32 v4, v[4:5]
	v_cvt_f32_f64_e32 v5, v[6:7]
	v_mul_f64 v[6:7], v[8:9], s[0:1]
	v_mul_f64 v[0:1], v[0:1], s[0:1]
	v_mov_b32_e32 v9, s3
	v_add_co_u32_e32 v8, vcc, s2, v11
	v_addc_co_u32_e32 v9, vcc, v12, v9, vcc
	global_store_dwordx2 v[8:9], v[4:5], off
	v_cvt_f32_f64_e32 v4, v[6:7]
	v_cvt_f32_f64_e32 v5, v[0:1]
	v_mov_b32_e32 v1, s3
	v_add_co_u32_e32 v0, vcc, s2, v8
	v_addc_co_u32_e32 v1, vcc, v9, v1, vcc
	global_store_dwordx2 v[0:1], v[4:5], off
	global_load_dwordx2 v[4:5], v69, s[8:9] offset:3168
	v_add_co_u32_e32 v0, vcc, s2, v0
	s_waitcnt vmcnt(0)
	v_mul_f32_e32 v6, v3, v5
	v_fmac_f32_e32 v6, v2, v4
	v_mul_f32_e32 v2, v2, v5
	v_fma_f32 v2, v4, v3, -v2
	v_cvt_f64_f32_e32 v[6:7], v6
	v_cvt_f64_f32_e32 v[2:3], v2
	v_mul_f64 v[4:5], v[6:7], s[0:1]
	v_mul_f64 v[2:3], v[2:3], s[0:1]
	v_cvt_f32_f64_e32 v4, v[4:5]
	v_cvt_f32_f64_e32 v5, v[2:3]
	v_mov_b32_e32 v2, s3
	v_addc_co_u32_e32 v1, vcc, v1, v2, vcc
	global_store_dwordx2 v[0:1], v[4:5], off
.LBB0_23:
	s_endpgm
	.section	.rodata,"a",@progbits
	.p2align	6, 0x0
	.amdhsa_kernel bluestein_single_back_len429_dim1_sp_op_CI_CI
		.amdhsa_group_segment_fixed_size 10296
		.amdhsa_private_segment_fixed_size 0
		.amdhsa_kernarg_size 104
		.amdhsa_user_sgpr_count 6
		.amdhsa_user_sgpr_private_segment_buffer 1
		.amdhsa_user_sgpr_dispatch_ptr 0
		.amdhsa_user_sgpr_queue_ptr 0
		.amdhsa_user_sgpr_kernarg_segment_ptr 1
		.amdhsa_user_sgpr_dispatch_id 0
		.amdhsa_user_sgpr_flat_scratch_init 0
		.amdhsa_user_sgpr_private_segment_size 0
		.amdhsa_uses_dynamic_stack 0
		.amdhsa_system_sgpr_private_segment_wavefront_offset 0
		.amdhsa_system_sgpr_workgroup_id_x 1
		.amdhsa_system_sgpr_workgroup_id_y 0
		.amdhsa_system_sgpr_workgroup_id_z 0
		.amdhsa_system_sgpr_workgroup_info 0
		.amdhsa_system_vgpr_workitem_id 0
		.amdhsa_next_free_vgpr 205
		.amdhsa_next_free_sgpr 18
		.amdhsa_reserve_vcc 1
		.amdhsa_reserve_flat_scratch 0
		.amdhsa_float_round_mode_32 0
		.amdhsa_float_round_mode_16_64 0
		.amdhsa_float_denorm_mode_32 3
		.amdhsa_float_denorm_mode_16_64 3
		.amdhsa_dx10_clamp 1
		.amdhsa_ieee_mode 1
		.amdhsa_fp16_overflow 0
		.amdhsa_exception_fp_ieee_invalid_op 0
		.amdhsa_exception_fp_denorm_src 0
		.amdhsa_exception_fp_ieee_div_zero 0
		.amdhsa_exception_fp_ieee_overflow 0
		.amdhsa_exception_fp_ieee_underflow 0
		.amdhsa_exception_fp_ieee_inexact 0
		.amdhsa_exception_int_div_zero 0
	.end_amdhsa_kernel
	.text
.Lfunc_end0:
	.size	bluestein_single_back_len429_dim1_sp_op_CI_CI, .Lfunc_end0-bluestein_single_back_len429_dim1_sp_op_CI_CI
                                        ; -- End function
	.section	.AMDGPU.csdata,"",@progbits
; Kernel info:
; codeLenInByte = 15476
; NumSgprs: 22
; NumVgprs: 205
; ScratchSize: 0
; MemoryBound: 0
; FloatMode: 240
; IeeeMode: 1
; LDSByteSize: 10296 bytes/workgroup (compile time only)
; SGPRBlocks: 2
; VGPRBlocks: 51
; NumSGPRsForWavesPerEU: 22
; NumVGPRsForWavesPerEU: 205
; Occupancy: 1
; WaveLimiterHint : 1
; COMPUTE_PGM_RSRC2:SCRATCH_EN: 0
; COMPUTE_PGM_RSRC2:USER_SGPR: 6
; COMPUTE_PGM_RSRC2:TRAP_HANDLER: 0
; COMPUTE_PGM_RSRC2:TGID_X_EN: 1
; COMPUTE_PGM_RSRC2:TGID_Y_EN: 0
; COMPUTE_PGM_RSRC2:TGID_Z_EN: 0
; COMPUTE_PGM_RSRC2:TIDIG_COMP_CNT: 0
	.type	__hip_cuid_96cb9068d4fc952f,@object ; @__hip_cuid_96cb9068d4fc952f
	.section	.bss,"aw",@nobits
	.globl	__hip_cuid_96cb9068d4fc952f
__hip_cuid_96cb9068d4fc952f:
	.byte	0                               ; 0x0
	.size	__hip_cuid_96cb9068d4fc952f, 1

	.ident	"AMD clang version 19.0.0git (https://github.com/RadeonOpenCompute/llvm-project roc-6.4.0 25133 c7fe45cf4b819c5991fe208aaa96edf142730f1d)"
	.section	".note.GNU-stack","",@progbits
	.addrsig
	.addrsig_sym __hip_cuid_96cb9068d4fc952f
	.amdgpu_metadata
---
amdhsa.kernels:
  - .args:
      - .actual_access:  read_only
        .address_space:  global
        .offset:         0
        .size:           8
        .value_kind:     global_buffer
      - .actual_access:  read_only
        .address_space:  global
        .offset:         8
        .size:           8
        .value_kind:     global_buffer
      - .actual_access:  read_only
        .address_space:  global
        .offset:         16
        .size:           8
        .value_kind:     global_buffer
      - .actual_access:  read_only
        .address_space:  global
        .offset:         24
        .size:           8
        .value_kind:     global_buffer
      - .actual_access:  read_only
        .address_space:  global
        .offset:         32
        .size:           8
        .value_kind:     global_buffer
      - .offset:         40
        .size:           8
        .value_kind:     by_value
      - .address_space:  global
        .offset:         48
        .size:           8
        .value_kind:     global_buffer
      - .address_space:  global
        .offset:         56
        .size:           8
        .value_kind:     global_buffer
      - .address_space:  global
        .offset:         64
        .size:           8
        .value_kind:     global_buffer
      - .address_space:  global
        .offset:         72
        .size:           8
        .value_kind:     global_buffer
      - .offset:         80
        .size:           4
        .value_kind:     by_value
      - .address_space:  global
        .offset:         88
        .size:           8
        .value_kind:     global_buffer
      - .address_space:  global
        .offset:         96
        .size:           8
        .value_kind:     global_buffer
    .group_segment_fixed_size: 10296
    .kernarg_segment_align: 8
    .kernarg_segment_size: 104
    .language:       OpenCL C
    .language_version:
      - 2
      - 0
    .max_flat_workgroup_size: 117
    .name:           bluestein_single_back_len429_dim1_sp_op_CI_CI
    .private_segment_fixed_size: 0
    .sgpr_count:     22
    .sgpr_spill_count: 0
    .symbol:         bluestein_single_back_len429_dim1_sp_op_CI_CI.kd
    .uniform_work_group_size: 1
    .uses_dynamic_stack: false
    .vgpr_count:     205
    .vgpr_spill_count: 0
    .wavefront_size: 64
amdhsa.target:   amdgcn-amd-amdhsa--gfx906
amdhsa.version:
  - 1
  - 2
...

	.end_amdgpu_metadata
